;; amdgpu-corpus repo=ROCm/rocBLAS kind=compiled arch=gfx1100 opt=O3
	.text
	.amdgcn_target "amdgcn-amd-amdhsa--gfx1100"
	.amdhsa_code_object_version 6
	.section	.text._ZL20rocblas_tpmvn_kernelILi512EPKfPfS2_EvbbiT0_llT1_lllT2_li,"axG",@progbits,_ZL20rocblas_tpmvn_kernelILi512EPKfPfS2_EvbbiT0_llT1_lllT2_li,comdat
	.globl	_ZL20rocblas_tpmvn_kernelILi512EPKfPfS2_EvbbiT0_llT1_lllT2_li ; -- Begin function _ZL20rocblas_tpmvn_kernelILi512EPKfPfS2_EvbbiT0_llT1_lllT2_li
	.p2align	8
	.type	_ZL20rocblas_tpmvn_kernelILi512EPKfPfS2_EvbbiT0_llT1_lllT2_li,@function
_ZL20rocblas_tpmvn_kernelILi512EPKfPfS2_EvbbiT0_llT1_lllT2_li: ; @_ZL20rocblas_tpmvn_kernelILi512EPKfPfS2_EvbbiT0_llT1_lllT2_li
; %bb.0:
	s_clause 0x1
	s_load_b32 s4, s[0:1], 0x64
	s_load_b64 s[2:3], s[0:1], 0x0
	s_waitcnt lgkmcnt(0)
	s_and_b32 s4, s4, 0xffff
	s_delay_alu instid0(SALU_CYCLE_1) | instskip(SKIP_1) | instid1(VALU_DEP_1)
	v_mad_u64_u32 v[1:2], null, s14, s4, v[0:1]
	s_mov_b32 s4, exec_lo
	v_cmpx_gt_i32_e64 s3, v1
	s_cbranch_execz .LBB0_18
; %bb.1:
	s_clause 0x1
	s_load_b32 s4, s[0:1], 0x0
	s_load_b512 s[16:31], s[0:1], 0x8
	v_ashrrev_i32_e32 v2, 31, v1
	s_waitcnt lgkmcnt(0)
	s_and_b32 s33, s4, 1
	s_mul_i32 s5, s15, s21
	s_mul_hi_u32 s6, s15, s20
	v_mul_lo_u32 v0, v1, s27
	v_mul_lo_u32 v5, v2, s26
	s_bitcmp1_b32 s2, 8
	v_mad_u64_u32 v[3:4], null, v1, s26, 0
	s_mul_i32 s4, s15, s20
	s_cselect_b32 s2, -1, 0
	s_add_i32 s5, s6, s5
	s_xor_b32 s20, s2, -1
	s_lshl_b64 s[10:11], s[4:5], 2
	s_mul_i32 s7, s15, s29
	s_add_u32 s2, s16, s10
	s_addc_u32 s4, s17, s11
	s_lshl_b64 s[12:13], s[18:19], 2
	s_mul_hi_u32 s8, s15, s28
	v_add3_u32 v4, v4, v0, v5
	s_add_u32 s2, s2, s12
	s_mul_i32 s6, s15, s28
	s_addc_u32 s14, s4, s13
	s_add_i32 s7, s8, s7
	v_lshlrev_b64 v[3:4], 2, v[3:4]
	s_lshl_b64 s[4:5], s[6:7], 2
	s_mov_b32 s21, -1
	s_add_u32 s8, s22, s4
	s_addc_u32 s9, s23, s5
	s_lshl_b64 s[6:7], s[24:25], 2
	s_delay_alu instid0(SALU_CYCLE_1)
	s_add_u32 s8, s8, s6
	s_addc_u32 s9, s9, s7
	v_add_co_u32 v3, vcc_lo, s8, v3
	v_add_co_ci_u32_e32 v4, vcc_lo, s9, v4, vcc_lo
	s_cmp_eq_u32 s33, 0
	global_load_b32 v0, v[3:4], off
	v_cndmask_b32_e64 v3, 0, 1, s20
	s_delay_alu instid0(VALU_DEP_1)
	v_cmp_ne_u32_e32 vcc_lo, 1, v3
	s_cbranch_scc0 .LBB0_9
; %bb.2:
	s_waitcnt vmcnt(0)
	v_mov_b32_e32 v3, v0
	s_and_b32 vcc_lo, exec_lo, vcc_lo
	s_cbranch_vccnz .LBB0_4
; %bb.3:
	v_add_co_u32 v5, vcc_lo, v1, -1
	v_add_co_ci_u32_e32 v3, vcc_lo, -1, v2, vcc_lo
	s_delay_alu instid0(VALU_DEP_2) | instskip(NEXT) | instid1(VALU_DEP_2)
	v_mul_lo_u32 v7, v5, v2
	v_mul_lo_u32 v6, v3, v1
	v_mad_u64_u32 v[3:4], null, v5, v1, 0
	s_delay_alu instid0(VALU_DEP_1) | instskip(SKIP_1) | instid1(VALU_DEP_2)
	v_add3_u32 v4, v4, v7, v6
	v_mad_i64_i32 v[5:6], null, v1, s3, 0
	v_lshrrev_b64 v[3:4], 1, v[3:4]
	s_delay_alu instid0(VALU_DEP_1) | instskip(NEXT) | instid1(VALU_DEP_2)
	v_sub_co_u32 v3, vcc_lo, v5, v3
	v_sub_co_ci_u32_e32 v4, vcc_lo, v6, v4, vcc_lo
	s_delay_alu instid0(VALU_DEP_1) | instskip(NEXT) | instid1(VALU_DEP_1)
	v_lshlrev_b64 v[3:4], 2, v[3:4]
	v_add_co_u32 v3, vcc_lo, s2, v3
	s_delay_alu instid0(VALU_DEP_2)
	v_add_co_ci_u32_e32 v4, vcc_lo, s14, v4, vcc_lo
	global_load_b32 v3, v[3:4], off
	s_waitcnt vmcnt(0)
	v_mul_f32_e32 v3, v0, v3
.LBB0_4:
	s_mov_b32 s21, 0
	s_mov_b32 s24, exec_lo
	v_cmpx_lt_i32_e32 0, v1
	s_cbranch_execz .LBB0_8
; %bb.5:
	v_lshlrev_b64 v[4:5], 2, v[1:2]
	s_ashr_i32 s19, s3, 31
	s_add_u32 s10, s10, s12
	s_addc_u32 s11, s11, s13
	s_add_u32 s12, s16, s10
	s_mov_b32 s18, s3
	s_addc_u32 s13, s17, s11
	v_add_co_u32 v4, vcc_lo, s12, v4
	s_lshl_b64 s[10:11], s[18:19], 2
	v_add_co_ci_u32_e32 v5, vcc_lo, s13, v5, vcc_lo
	s_add_u32 s25, s10, -4
	s_addc_u32 s28, s11, -1
	s_lshl_b64 s[10:11], s[26:27], 2
	s_mov_b64 s[12:13], 0
	s_mov_b32 s29, 0
	s_mov_b64 s[18:19], 0
	s_mov_b64 s[16:17], 0
	.p2align	6
.LBB0_6:                                ; =>This Inner Loop Header: Depth=1
	s_lshl_b64 s[34:35], s[12:13], 1
	s_delay_alu instid0(SALU_CYCLE_1)
	s_and_b32 s33, s34, -4
	s_add_u32 s16, s16, 1
	v_sub_co_u32 v6, vcc_lo, v4, s33
	v_subrev_co_ci_u32_e32 v7, vcc_lo, s35, v5, vcc_lo
	s_load_b32 s33, s[8:9], 0x0
	v_add_co_u32 v4, vcc_lo, v4, s25
	global_load_b32 v6, v[6:7], off
	s_addc_u32 s17, s17, 0
	v_add_co_ci_u32_e32 v5, vcc_lo, s28, v5, vcc_lo
	s_add_u32 s34, s18, 2
	v_cmp_eq_u32_e32 vcc_lo, s16, v1
	s_addc_u32 s35, s19, 0
	s_add_u32 s12, s12, s18
	s_addc_u32 s13, s13, s19
	s_add_u32 s8, s8, s10
	s_addc_u32 s9, s9, s11
	s_or_b32 s29, vcc_lo, s29
	s_mov_b64 s[18:19], s[34:35]
	s_waitcnt vmcnt(0) lgkmcnt(0)
	v_fmac_f32_e32 v3, s33, v6
	s_and_not1_b32 exec_lo, exec_lo, s29
	s_cbranch_execnz .LBB0_6
; %bb.7:
	s_or_b32 exec_lo, exec_lo, s29
.LBB0_8:
	s_delay_alu instid0(SALU_CYCLE_1) | instskip(NEXT) | instid1(SALU_CYCLE_1)
	s_or_b32 exec_lo, exec_lo, s24
	s_and_b32 vcc_lo, exec_lo, s21
	s_cbranch_vccnz .LBB0_10
	s_branch .LBB0_17
.LBB0_9:
                                        ; implicit-def: $vgpr3
	s_and_b32 vcc_lo, exec_lo, s21
	s_cbranch_vccz .LBB0_17
.LBB0_10:
	v_add_nc_u32_e32 v3, 1, v1
	s_and_not1_b32 vcc_lo, exec_lo, s20
	s_cbranch_vccnz .LBB0_12
; %bb.11:
	s_delay_alu instid0(VALU_DEP_1) | instskip(SKIP_1) | instid1(VALU_DEP_2)
	v_mad_i64_i32 v[4:5], null, v3, v1, 0
	v_lshlrev_b64 v[6:7], 2, v[1:2]
	v_lshlrev_b64 v[4:5], 1, v[4:5]
	s_delay_alu instid0(VALU_DEP_1) | instskip(NEXT) | instid1(VALU_DEP_1)
	v_and_b32_e32 v4, -4, v4
	v_add_co_u32 v4, vcc_lo, s2, v4
	s_delay_alu instid0(VALU_DEP_3) | instskip(NEXT) | instid1(VALU_DEP_2)
	v_add_co_ci_u32_e32 v5, vcc_lo, s14, v5, vcc_lo
	v_add_co_u32 v4, vcc_lo, v4, v6
	s_delay_alu instid0(VALU_DEP_2)
	v_add_co_ci_u32_e32 v5, vcc_lo, v5, v7, vcc_lo
	global_load_b32 v4, v[4:5], off
	s_waitcnt vmcnt(0)
	v_mul_f32_e32 v0, v0, v4
.LBB0_12:
	s_mov_b32 s8, exec_lo
	s_delay_alu instid0(VALU_DEP_1)
	v_cmpx_gt_i32_e64 s3, v3
	s_cbranch_execz .LBB0_16
; %bb.13:
	v_ashrrev_i32_e32 v4, 31, v3
	v_mul_lo_u32 v8, s27, v3
	v_mad_u64_u32 v[5:6], null, s26, v3, 0
	v_lshlrev_b64 v[9:10], 2, v[1:2]
	s_delay_alu instid0(VALU_DEP_4)
	v_mul_lo_u32 v11, s26, v4
	s_add_u32 s6, s22, s6
	v_add_nc_u32_e32 v7, 2, v1
	s_addc_u32 s7, s23, s7
	s_add_u32 s4, s6, s4
	v_add_co_u32 v9, vcc_lo, s2, v9
	v_add_co_ci_u32_e32 v10, vcc_lo, s14, v10, vcc_lo
	s_delay_alu instid0(VALU_DEP_4) | instskip(SKIP_3) | instid1(VALU_DEP_2)
	v_add3_u32 v6, v6, v11, v8
	s_addc_u32 s5, s7, s5
	v_ashrrev_i32_e32 v8, 31, v7
	s_mov_b32 s6, 0
	v_lshlrev_b64 v[5:6], 2, v[5:6]
	s_delay_alu instid0(VALU_DEP_1) | instskip(NEXT) | instid1(VALU_DEP_2)
	v_add_co_u32 v5, vcc_lo, s4, v5
	v_add_co_ci_u32_e32 v6, vcc_lo, s5, v6, vcc_lo
	s_lshl_b64 s[4:5], s[26:27], 2
	s_set_inst_prefetch_distance 0x1
	.p2align	6
.LBB0_14:                               ; =>This Inner Loop Header: Depth=1
	v_mul_lo_u32 v13, v8, v3
	v_mul_lo_u32 v14, v7, v4
	v_mad_u64_u32 v[11:12], null, v7, v3, 0
	s_delay_alu instid0(VALU_DEP_1) | instskip(NEXT) | instid1(VALU_DEP_1)
	v_add3_u32 v12, v12, v14, v13
	v_lshlrev_b64 v[11:12], 1, v[11:12]
	s_delay_alu instid0(VALU_DEP_1) | instskip(NEXT) | instid1(VALU_DEP_1)
	v_and_b32_e32 v11, -4, v11
	v_add_co_u32 v11, vcc_lo, v9, v11
	s_delay_alu instid0(VALU_DEP_3)
	v_add_co_ci_u32_e32 v12, vcc_lo, v10, v12, vcc_lo
	global_load_b32 v13, v[5:6], off
	global_load_b32 v11, v[11:12], off
	v_add_co_u32 v3, vcc_lo, v3, 1
	v_add_co_ci_u32_e32 v4, vcc_lo, 0, v4, vcc_lo
	v_add_co_u32 v7, vcc_lo, v7, 1
	v_add_co_ci_u32_e32 v8, vcc_lo, 0, v8, vcc_lo
	v_add_co_u32 v5, vcc_lo, v5, s4
	v_cmp_le_i32_e64 s2, s3, v3
	v_add_co_ci_u32_e32 v6, vcc_lo, s5, v6, vcc_lo
	s_delay_alu instid0(VALU_DEP_2)
	s_or_b32 s6, s2, s6
	s_waitcnt vmcnt(0)
	v_fmac_f32_e32 v0, v11, v13
	s_and_not1_b32 exec_lo, exec_lo, s6
	s_cbranch_execnz .LBB0_14
; %bb.15:
	s_set_inst_prefetch_distance 0x2
	s_or_b32 exec_lo, exec_lo, s6
.LBB0_16:
	s_delay_alu instid0(SALU_CYCLE_1)
	s_or_b32 exec_lo, exec_lo, s8
	s_waitcnt vmcnt(0)
	v_mov_b32_e32 v3, v0
.LBB0_17:
	s_load_b64 s[0:1], s[0:1], 0x48
	s_waitcnt vmcnt(0)
	v_lshlrev_b64 v[0:1], 2, v[1:2]
	s_waitcnt lgkmcnt(0)
	s_mul_i32 s1, s15, s1
	s_mul_hi_u32 s2, s15, s0
	s_mul_i32 s0, s15, s0
	s_add_i32 s1, s2, s1
	s_delay_alu instid0(SALU_CYCLE_1) | instskip(NEXT) | instid1(SALU_CYCLE_1)
	s_lshl_b64 s[0:1], s[0:1], 2
	s_add_u32 s0, s30, s0
	s_addc_u32 s1, s31, s1
	v_add_co_u32 v0, vcc_lo, s0, v0
	v_add_co_ci_u32_e32 v1, vcc_lo, s1, v1, vcc_lo
	global_store_b32 v[0:1], v3, off
.LBB0_18:
	s_nop 0
	s_sendmsg sendmsg(MSG_DEALLOC_VGPRS)
	s_endpgm
	.section	.rodata,"a",@progbits
	.p2align	6, 0x0
	.amdhsa_kernel _ZL20rocblas_tpmvn_kernelILi512EPKfPfS2_EvbbiT0_llT1_lllT2_li
		.amdhsa_group_segment_fixed_size 0
		.amdhsa_private_segment_fixed_size 0
		.amdhsa_kernarg_size 344
		.amdhsa_user_sgpr_count 14
		.amdhsa_user_sgpr_dispatch_ptr 0
		.amdhsa_user_sgpr_queue_ptr 0
		.amdhsa_user_sgpr_kernarg_segment_ptr 1
		.amdhsa_user_sgpr_dispatch_id 0
		.amdhsa_user_sgpr_private_segment_size 0
		.amdhsa_wavefront_size32 1
		.amdhsa_uses_dynamic_stack 0
		.amdhsa_enable_private_segment 0
		.amdhsa_system_sgpr_workgroup_id_x 1
		.amdhsa_system_sgpr_workgroup_id_y 0
		.amdhsa_system_sgpr_workgroup_id_z 1
		.amdhsa_system_sgpr_workgroup_info 0
		.amdhsa_system_vgpr_workitem_id 0
		.amdhsa_next_free_vgpr 15
		.amdhsa_next_free_sgpr 36
		.amdhsa_reserve_vcc 1
		.amdhsa_float_round_mode_32 0
		.amdhsa_float_round_mode_16_64 0
		.amdhsa_float_denorm_mode_32 3
		.amdhsa_float_denorm_mode_16_64 3
		.amdhsa_dx10_clamp 1
		.amdhsa_ieee_mode 1
		.amdhsa_fp16_overflow 0
		.amdhsa_workgroup_processor_mode 1
		.amdhsa_memory_ordered 1
		.amdhsa_forward_progress 0
		.amdhsa_shared_vgpr_count 0
		.amdhsa_exception_fp_ieee_invalid_op 0
		.amdhsa_exception_fp_denorm_src 0
		.amdhsa_exception_fp_ieee_div_zero 0
		.amdhsa_exception_fp_ieee_overflow 0
		.amdhsa_exception_fp_ieee_underflow 0
		.amdhsa_exception_fp_ieee_inexact 0
		.amdhsa_exception_int_div_zero 0
	.end_amdhsa_kernel
	.section	.text._ZL20rocblas_tpmvn_kernelILi512EPKfPfS2_EvbbiT0_llT1_lllT2_li,"axG",@progbits,_ZL20rocblas_tpmvn_kernelILi512EPKfPfS2_EvbbiT0_llT1_lllT2_li,comdat
.Lfunc_end0:
	.size	_ZL20rocblas_tpmvn_kernelILi512EPKfPfS2_EvbbiT0_llT1_lllT2_li, .Lfunc_end0-_ZL20rocblas_tpmvn_kernelILi512EPKfPfS2_EvbbiT0_llT1_lllT2_li
                                        ; -- End function
	.section	.AMDGPU.csdata,"",@progbits
; Kernel info:
; codeLenInByte = 1160
; NumSgprs: 38
; NumVgprs: 15
; ScratchSize: 0
; MemoryBound: 0
; FloatMode: 240
; IeeeMode: 1
; LDSByteSize: 0 bytes/workgroup (compile time only)
; SGPRBlocks: 4
; VGPRBlocks: 1
; NumSGPRsForWavesPerEU: 38
; NumVGPRsForWavesPerEU: 15
; Occupancy: 16
; WaveLimiterHint : 0
; COMPUTE_PGM_RSRC2:SCRATCH_EN: 0
; COMPUTE_PGM_RSRC2:USER_SGPR: 14
; COMPUTE_PGM_RSRC2:TRAP_HANDLER: 0
; COMPUTE_PGM_RSRC2:TGID_X_EN: 1
; COMPUTE_PGM_RSRC2:TGID_Y_EN: 0
; COMPUTE_PGM_RSRC2:TGID_Z_EN: 1
; COMPUTE_PGM_RSRC2:TIDIG_COMP_CNT: 0
	.section	.text._ZL20rocblas_tpmvt_kernelILi512EPKfPfS2_EvbbiT0_llT1_lllT2_li,"axG",@progbits,_ZL20rocblas_tpmvt_kernelILi512EPKfPfS2_EvbbiT0_llT1_lllT2_li,comdat
	.globl	_ZL20rocblas_tpmvt_kernelILi512EPKfPfS2_EvbbiT0_llT1_lllT2_li ; -- Begin function _ZL20rocblas_tpmvt_kernelILi512EPKfPfS2_EvbbiT0_llT1_lllT2_li
	.p2align	8
	.type	_ZL20rocblas_tpmvt_kernelILi512EPKfPfS2_EvbbiT0_llT1_lllT2_li,@function
_ZL20rocblas_tpmvt_kernelILi512EPKfPfS2_EvbbiT0_llT1_lllT2_li: ; @_ZL20rocblas_tpmvt_kernelILi512EPKfPfS2_EvbbiT0_llT1_lllT2_li
; %bb.0:
	s_clause 0x1
	s_load_b32 s4, s[0:1], 0x64
	s_load_b64 s[2:3], s[0:1], 0x0
	s_waitcnt lgkmcnt(0)
	s_and_b32 s4, s4, 0xffff
	s_delay_alu instid0(SALU_CYCLE_1) | instskip(SKIP_1) | instid1(VALU_DEP_1)
	v_mad_u64_u32 v[1:2], null, s14, s4, v[0:1]
	s_mov_b32 s4, exec_lo
	v_cmpx_gt_i32_e64 s3, v1
	s_cbranch_execz .LBB1_18
; %bb.1:
	s_clause 0x1
	s_load_b32 s4, s[0:1], 0x0
	s_load_b512 s[16:31], s[0:1], 0x8
	v_ashrrev_i32_e32 v2, 31, v1
	s_waitcnt lgkmcnt(0)
	s_and_b32 s33, s4, 1
	s_mul_i32 s5, s15, s21
	s_mul_hi_u32 s6, s15, s20
	v_mul_lo_u32 v0, v1, s27
	v_mul_lo_u32 v5, v2, s26
	s_bitcmp1_b32 s2, 8
	v_mad_u64_u32 v[3:4], null, v1, s26, 0
	s_mul_i32 s4, s15, s20
	s_cselect_b32 s2, -1, 0
	s_add_i32 s5, s6, s5
	s_xor_b32 s20, s2, -1
	s_lshl_b64 s[6:7], s[4:5], 2
	s_mul_i32 s11, s15, s29
	s_add_u32 s2, s16, s6
	s_addc_u32 s4, s17, s7
	s_lshl_b64 s[8:9], s[18:19], 2
	s_mul_hi_u32 s12, s15, s28
	v_add3_u32 v4, v4, v0, v5
	s_add_u32 s14, s2, s8
	s_mul_i32 s10, s15, s28
	s_addc_u32 s18, s4, s9
	s_add_i32 s11, s12, s11
	v_lshlrev_b64 v[3:4], 2, v[3:4]
	s_lshl_b64 s[10:11], s[10:11], 2
	s_delay_alu instid0(SALU_CYCLE_1) | instskip(SKIP_2) | instid1(SALU_CYCLE_1)
	s_add_u32 s2, s22, s10
	s_addc_u32 s5, s23, s11
	s_lshl_b64 s[12:13], s[24:25], 2
	s_add_u32 s4, s2, s12
	s_addc_u32 s5, s5, s13
	v_add_co_u32 v3, vcc_lo, s4, v3
	v_add_co_ci_u32_e32 v4, vcc_lo, s5, v4, vcc_lo
	s_cmp_eq_u32 s33, 0
	s_mov_b32 s2, -1
	global_load_b32 v0, v[3:4], off
	v_cndmask_b32_e64 v3, 0, 1, s20
	s_delay_alu instid0(VALU_DEP_1)
	v_cmp_ne_u32_e32 vcc_lo, 1, v3
	s_cbranch_scc0 .LBB1_9
; %bb.2:
	s_waitcnt vmcnt(0)
	v_mov_b32_e32 v8, v0
	s_and_b32 vcc_lo, exec_lo, vcc_lo
	s_cbranch_vccnz .LBB1_4
; %bb.3:
	v_add_co_u32 v5, vcc_lo, v1, -1
	v_add_co_ci_u32_e32 v3, vcc_lo, -1, v2, vcc_lo
	s_delay_alu instid0(VALU_DEP_2) | instskip(NEXT) | instid1(VALU_DEP_2)
	v_mul_lo_u32 v7, v5, v2
	v_mul_lo_u32 v6, v3, v1
	v_mad_u64_u32 v[3:4], null, v5, v1, 0
	s_delay_alu instid0(VALU_DEP_1) | instskip(SKIP_1) | instid1(VALU_DEP_2)
	v_add3_u32 v4, v4, v7, v6
	v_mad_i64_i32 v[5:6], null, v1, s3, 0
	v_lshrrev_b64 v[3:4], 1, v[3:4]
	s_delay_alu instid0(VALU_DEP_1) | instskip(NEXT) | instid1(VALU_DEP_2)
	v_sub_co_u32 v3, vcc_lo, v5, v3
	v_sub_co_ci_u32_e32 v4, vcc_lo, v6, v4, vcc_lo
	s_delay_alu instid0(VALU_DEP_1) | instskip(NEXT) | instid1(VALU_DEP_1)
	v_lshlrev_b64 v[3:4], 2, v[3:4]
	v_add_co_u32 v3, vcc_lo, s14, v3
	s_delay_alu instid0(VALU_DEP_2)
	v_add_co_ci_u32_e32 v4, vcc_lo, s18, v4, vcc_lo
	global_load_b32 v3, v[3:4], off
	s_waitcnt vmcnt(0)
	v_mul_f32_e32 v8, v0, v3
.LBB1_4:
	v_add_nc_u32_e32 v3, 1, v1
	s_mov_b32 s19, exec_lo
	s_delay_alu instid0(VALU_DEP_1)
	v_cmpx_gt_i32_e64 s3, v3
	s_cbranch_execz .LBB1_8
; %bb.5:
	v_add_co_u32 v4, vcc_lo, v1, -1
	v_add_co_ci_u32_e32 v5, vcc_lo, -1, v2, vcc_lo
	s_ashr_i32 s25, s3, 31
	s_add_u32 s2, s22, s12
	s_mov_b32 s24, s3
	s_addc_u32 s12, s23, s13
	v_mul_lo_u32 v7, v5, v1
	v_mul_lo_u32 v9, v4, v2
	v_mad_u64_u32 v[5:6], null, v4, v1, 0
	s_add_u32 s2, s2, s10
	s_addc_u32 s21, s12, s11
	s_lshl_b64 s[12:13], s[24:25], 2
	s_lshl_b64 s[10:11], s[26:27], 2
	v_ashrrev_i32_e32 v4, 31, v3
	s_add_u32 s12, s12, -4
	s_addc_u32 s13, s13, -1
	s_add_u32 s6, s8, s6
	s_addc_u32 s7, s9, s7
	v_mul_lo_u32 v15, s27, v3
	v_mul_lo_u32 v16, s26, v4
	v_add3_u32 v6, v6, v9, v7
	v_mad_u64_u32 v[9:10], null, s26, v3, 0
	v_mad_u64_u32 v[11:12], null, s12, v1, s[6:7]
	v_mul_lo_u32 v7, s12, v2
	v_mul_lo_u32 v17, s13, v1
	v_lshlrev_b64 v[5:6], 1, v[5:6]
	v_lshlrev_b64 v[13:14], 2, v[3:4]
	v_add3_u32 v10, v10, v16, v15
	s_mov_b32 s6, 0
	s_delay_alu instid0(VALU_DEP_4) | instskip(NEXT) | instid1(VALU_DEP_4)
	v_add3_u32 v4, v17, v12, v7
	v_and_b32_e32 v7, -4, v5
	s_delay_alu instid0(VALU_DEP_4) | instskip(NEXT) | instid1(VALU_DEP_3)
	v_add_co_u32 v11, vcc_lo, v11, v13
	v_add_co_ci_u32_e32 v12, vcc_lo, v4, v14, vcc_lo
	v_lshlrev_b64 v[4:5], 2, v[9:10]
	s_delay_alu instid0(VALU_DEP_3) | instskip(NEXT) | instid1(VALU_DEP_3)
	v_sub_co_u32 v7, vcc_lo, v11, v7
	v_sub_co_ci_u32_e32 v9, vcc_lo, v12, v6, vcc_lo
	s_delay_alu instid0(VALU_DEP_3) | instskip(NEXT) | instid1(VALU_DEP_4)
	v_add_co_u32 v4, vcc_lo, s2, v4
	v_add_co_ci_u32_e32 v5, vcc_lo, s21, v5, vcc_lo
	s_delay_alu instid0(VALU_DEP_4) | instskip(NEXT) | instid1(VALU_DEP_4)
	v_add_co_u32 v6, vcc_lo, s16, v7
	v_add_co_ci_u32_e32 v7, vcc_lo, s17, v9, vcc_lo
	.p2align	6
.LBB1_6:                                ; =>This Inner Loop Header: Depth=1
	global_load_b32 v9, v[6:7], off
	global_load_b32 v10, v[4:5], off
	v_add_nc_u32_e32 v3, 1, v3
	v_add_co_u32 v4, vcc_lo, v4, s10
	v_add_co_ci_u32_e32 v5, vcc_lo, s11, v5, vcc_lo
	v_add_co_u32 v6, vcc_lo, v6, 4
	v_add_co_ci_u32_e32 v7, vcc_lo, 0, v7, vcc_lo
	s_waitcnt vmcnt(0)
	v_fmac_f32_e32 v8, v9, v10
	v_cmp_le_i32_e64 s2, s3, v3
	s_delay_alu instid0(VALU_DEP_1) | instskip(NEXT) | instid1(SALU_CYCLE_1)
	s_or_b32 s6, s2, s6
	s_and_not1_b32 exec_lo, exec_lo, s6
	s_cbranch_execnz .LBB1_6
; %bb.7:
	s_or_b32 exec_lo, exec_lo, s6
.LBB1_8:
	s_delay_alu instid0(SALU_CYCLE_1)
	s_or_b32 exec_lo, exec_lo, s19
	s_branch .LBB1_17
.LBB1_9:
                                        ; implicit-def: $vgpr8
	s_and_b32 vcc_lo, exec_lo, s2
	s_cbranch_vccz .LBB1_17
; %bb.10:
	v_add_nc_u32_e32 v3, 1, v1
	s_and_not1_b32 vcc_lo, exec_lo, s20
	s_cbranch_vccnz .LBB1_12
; %bb.11:
	s_delay_alu instid0(VALU_DEP_1) | instskip(SKIP_1) | instid1(VALU_DEP_2)
	v_mad_i64_i32 v[4:5], null, v3, v1, 0
	v_lshlrev_b64 v[6:7], 2, v[1:2]
	v_lshlrev_b64 v[4:5], 1, v[4:5]
	s_delay_alu instid0(VALU_DEP_1) | instskip(NEXT) | instid1(VALU_DEP_1)
	v_and_b32_e32 v4, -4, v4
	v_add_co_u32 v4, vcc_lo, s14, v4
	s_delay_alu instid0(VALU_DEP_3) | instskip(NEXT) | instid1(VALU_DEP_2)
	v_add_co_ci_u32_e32 v5, vcc_lo, s18, v5, vcc_lo
	v_add_co_u32 v4, vcc_lo, v4, v6
	s_delay_alu instid0(VALU_DEP_2)
	v_add_co_ci_u32_e32 v5, vcc_lo, v5, v7, vcc_lo
	global_load_b32 v4, v[4:5], off
	s_waitcnt vmcnt(0)
	v_mul_f32_e32 v0, v0, v4
.LBB1_12:
	s_mov_b32 s8, 0
	s_mov_b32 s3, exec_lo
	v_cmpx_lt_i32_e32 0, v1
	s_cbranch_execz .LBB1_16
; %bb.13:
	v_mad_u64_u32 v[4:5], null, v3, v1, 0
	s_lshl_b64 s[6:7], s[26:27], 2
	s_delay_alu instid0(VALU_DEP_1) | instskip(NEXT) | instid1(VALU_DEP_1)
	v_mad_u64_u32 v[6:7], null, v3, v2, v[5:6]
	v_mov_b32_e32 v5, v6
	s_delay_alu instid0(VALU_DEP_1) | instskip(SKIP_1) | instid1(VALU_DEP_2)
	v_lshlrev_b64 v[3:4], 1, v[4:5]
	v_mov_b32_e32 v5, v1
	v_and_b32_e32 v3, -4, v3
	s_delay_alu instid0(VALU_DEP_1) | instskip(NEXT) | instid1(VALU_DEP_4)
	v_add_co_u32 v3, vcc_lo, s14, v3
	v_add_co_ci_u32_e32 v4, vcc_lo, s18, v4, vcc_lo
.LBB1_14:                               ; =>This Inner Loop Header: Depth=1
	global_load_b32 v6, v[3:4], off
	s_load_b32 s9, s[4:5], 0x0
	v_add_nc_u32_e32 v5, -1, v5
	v_add_co_u32 v3, vcc_lo, v3, 4
	v_add_co_ci_u32_e32 v4, vcc_lo, 0, v4, vcc_lo
	s_add_u32 s4, s4, s6
	s_addc_u32 s5, s5, s7
	s_waitcnt vmcnt(0) lgkmcnt(0)
	v_fmac_f32_e32 v0, s9, v6
	v_cmp_eq_u32_e64 s2, 0, v5
	s_delay_alu instid0(VALU_DEP_1) | instskip(NEXT) | instid1(SALU_CYCLE_1)
	s_or_b32 s8, s2, s8
	s_and_not1_b32 exec_lo, exec_lo, s8
	s_cbranch_execnz .LBB1_14
; %bb.15:
	s_or_b32 exec_lo, exec_lo, s8
.LBB1_16:
	s_delay_alu instid0(SALU_CYCLE_1)
	s_or_b32 exec_lo, exec_lo, s3
	s_waitcnt vmcnt(0)
	v_mov_b32_e32 v8, v0
.LBB1_17:
	s_load_b64 s[0:1], s[0:1], 0x48
	s_waitcnt vmcnt(0)
	v_lshlrev_b64 v[0:1], 2, v[1:2]
	s_waitcnt lgkmcnt(0)
	s_mul_i32 s1, s15, s1
	s_mul_hi_u32 s2, s15, s0
	s_mul_i32 s0, s15, s0
	s_add_i32 s1, s2, s1
	s_delay_alu instid0(SALU_CYCLE_1) | instskip(NEXT) | instid1(SALU_CYCLE_1)
	s_lshl_b64 s[0:1], s[0:1], 2
	s_add_u32 s0, s30, s0
	s_addc_u32 s1, s31, s1
	v_add_co_u32 v0, vcc_lo, s0, v0
	v_add_co_ci_u32_e32 v1, vcc_lo, s1, v1, vcc_lo
	global_store_b32 v[0:1], v8, off
.LBB1_18:
	s_nop 0
	s_sendmsg sendmsg(MSG_DEALLOC_VGPRS)
	s_endpgm
	.section	.rodata,"a",@progbits
	.p2align	6, 0x0
	.amdhsa_kernel _ZL20rocblas_tpmvt_kernelILi512EPKfPfS2_EvbbiT0_llT1_lllT2_li
		.amdhsa_group_segment_fixed_size 0
		.amdhsa_private_segment_fixed_size 0
		.amdhsa_kernarg_size 344
		.amdhsa_user_sgpr_count 14
		.amdhsa_user_sgpr_dispatch_ptr 0
		.amdhsa_user_sgpr_queue_ptr 0
		.amdhsa_user_sgpr_kernarg_segment_ptr 1
		.amdhsa_user_sgpr_dispatch_id 0
		.amdhsa_user_sgpr_private_segment_size 0
		.amdhsa_wavefront_size32 1
		.amdhsa_uses_dynamic_stack 0
		.amdhsa_enable_private_segment 0
		.amdhsa_system_sgpr_workgroup_id_x 1
		.amdhsa_system_sgpr_workgroup_id_y 0
		.amdhsa_system_sgpr_workgroup_id_z 1
		.amdhsa_system_sgpr_workgroup_info 0
		.amdhsa_system_vgpr_workitem_id 0
		.amdhsa_next_free_vgpr 18
		.amdhsa_next_free_sgpr 34
		.amdhsa_reserve_vcc 1
		.amdhsa_float_round_mode_32 0
		.amdhsa_float_round_mode_16_64 0
		.amdhsa_float_denorm_mode_32 3
		.amdhsa_float_denorm_mode_16_64 3
		.amdhsa_dx10_clamp 1
		.amdhsa_ieee_mode 1
		.amdhsa_fp16_overflow 0
		.amdhsa_workgroup_processor_mode 1
		.amdhsa_memory_ordered 1
		.amdhsa_forward_progress 0
		.amdhsa_shared_vgpr_count 0
		.amdhsa_exception_fp_ieee_invalid_op 0
		.amdhsa_exception_fp_denorm_src 0
		.amdhsa_exception_fp_ieee_div_zero 0
		.amdhsa_exception_fp_ieee_overflow 0
		.amdhsa_exception_fp_ieee_underflow 0
		.amdhsa_exception_fp_ieee_inexact 0
		.amdhsa_exception_int_div_zero 0
	.end_amdhsa_kernel
	.section	.text._ZL20rocblas_tpmvt_kernelILi512EPKfPfS2_EvbbiT0_llT1_lllT2_li,"axG",@progbits,_ZL20rocblas_tpmvt_kernelILi512EPKfPfS2_EvbbiT0_llT1_lllT2_li,comdat
.Lfunc_end1:
	.size	_ZL20rocblas_tpmvt_kernelILi512EPKfPfS2_EvbbiT0_llT1_lllT2_li, .Lfunc_end1-_ZL20rocblas_tpmvt_kernelILi512EPKfPfS2_EvbbiT0_llT1_lllT2_li
                                        ; -- End function
	.section	.AMDGPU.csdata,"",@progbits
; Kernel info:
; codeLenInByte = 1160
; NumSgprs: 36
; NumVgprs: 18
; ScratchSize: 0
; MemoryBound: 0
; FloatMode: 240
; IeeeMode: 1
; LDSByteSize: 0 bytes/workgroup (compile time only)
; SGPRBlocks: 4
; VGPRBlocks: 2
; NumSGPRsForWavesPerEU: 36
; NumVGPRsForWavesPerEU: 18
; Occupancy: 16
; WaveLimiterHint : 0
; COMPUTE_PGM_RSRC2:SCRATCH_EN: 0
; COMPUTE_PGM_RSRC2:USER_SGPR: 14
; COMPUTE_PGM_RSRC2:TRAP_HANDLER: 0
; COMPUTE_PGM_RSRC2:TGID_X_EN: 1
; COMPUTE_PGM_RSRC2:TGID_Y_EN: 0
; COMPUTE_PGM_RSRC2:TGID_Z_EN: 1
; COMPUTE_PGM_RSRC2:TIDIG_COMP_CNT: 0
	.section	.text._ZL20rocblas_tpmvc_kernelILi512EPKfPfS2_EvbbiT0_llT1_lllT2_li,"axG",@progbits,_ZL20rocblas_tpmvc_kernelILi512EPKfPfS2_EvbbiT0_llT1_lllT2_li,comdat
	.globl	_ZL20rocblas_tpmvc_kernelILi512EPKfPfS2_EvbbiT0_llT1_lllT2_li ; -- Begin function _ZL20rocblas_tpmvc_kernelILi512EPKfPfS2_EvbbiT0_llT1_lllT2_li
	.p2align	8
	.type	_ZL20rocblas_tpmvc_kernelILi512EPKfPfS2_EvbbiT0_llT1_lllT2_li,@function
_ZL20rocblas_tpmvc_kernelILi512EPKfPfS2_EvbbiT0_llT1_lllT2_li: ; @_ZL20rocblas_tpmvc_kernelILi512EPKfPfS2_EvbbiT0_llT1_lllT2_li
; %bb.0:
	s_clause 0x1
	s_load_b32 s4, s[0:1], 0x64
	s_load_b64 s[2:3], s[0:1], 0x0
	s_waitcnt lgkmcnt(0)
	s_and_b32 s4, s4, 0xffff
	s_delay_alu instid0(SALU_CYCLE_1) | instskip(SKIP_1) | instid1(VALU_DEP_1)
	v_mad_u64_u32 v[1:2], null, s14, s4, v[0:1]
	s_mov_b32 s4, exec_lo
	v_cmpx_gt_i32_e64 s3, v1
	s_cbranch_execz .LBB2_18
; %bb.1:
	s_clause 0x1
	s_load_b32 s4, s[0:1], 0x0
	s_load_b512 s[16:31], s[0:1], 0x8
	v_ashrrev_i32_e32 v2, 31, v1
	s_waitcnt lgkmcnt(0)
	s_and_b32 s33, s4, 1
	s_mul_i32 s5, s15, s21
	s_mul_hi_u32 s6, s15, s20
	v_mul_lo_u32 v0, v1, s27
	v_mul_lo_u32 v5, v2, s26
	s_bitcmp1_b32 s2, 8
	v_mad_u64_u32 v[3:4], null, v1, s26, 0
	s_mul_i32 s4, s15, s20
	s_cselect_b32 s2, -1, 0
	s_add_i32 s5, s6, s5
	s_xor_b32 s20, s2, -1
	s_lshl_b64 s[6:7], s[4:5], 2
	s_mul_i32 s11, s15, s29
	s_add_u32 s2, s16, s6
	s_addc_u32 s4, s17, s7
	s_lshl_b64 s[8:9], s[18:19], 2
	s_mul_hi_u32 s12, s15, s28
	v_add3_u32 v4, v4, v0, v5
	s_add_u32 s14, s2, s8
	s_mul_i32 s10, s15, s28
	s_addc_u32 s18, s4, s9
	s_add_i32 s11, s12, s11
	v_lshlrev_b64 v[3:4], 2, v[3:4]
	s_lshl_b64 s[10:11], s[10:11], 2
	s_delay_alu instid0(SALU_CYCLE_1) | instskip(SKIP_2) | instid1(SALU_CYCLE_1)
	s_add_u32 s2, s22, s10
	s_addc_u32 s5, s23, s11
	s_lshl_b64 s[12:13], s[24:25], 2
	s_add_u32 s4, s2, s12
	s_addc_u32 s5, s5, s13
	v_add_co_u32 v3, vcc_lo, s4, v3
	v_add_co_ci_u32_e32 v4, vcc_lo, s5, v4, vcc_lo
	s_cmp_eq_u32 s33, 0
	s_mov_b32 s2, -1
	global_load_b32 v0, v[3:4], off
	v_cndmask_b32_e64 v3, 0, 1, s20
	s_delay_alu instid0(VALU_DEP_1)
	v_cmp_ne_u32_e32 vcc_lo, 1, v3
	s_cbranch_scc0 .LBB2_9
; %bb.2:
	s_waitcnt vmcnt(0)
	v_mov_b32_e32 v8, v0
	s_and_b32 vcc_lo, exec_lo, vcc_lo
	s_cbranch_vccnz .LBB2_4
; %bb.3:
	v_add_co_u32 v5, vcc_lo, v1, -1
	v_add_co_ci_u32_e32 v3, vcc_lo, -1, v2, vcc_lo
	s_delay_alu instid0(VALU_DEP_2) | instskip(NEXT) | instid1(VALU_DEP_2)
	v_mul_lo_u32 v7, v5, v2
	v_mul_lo_u32 v6, v3, v1
	v_mad_u64_u32 v[3:4], null, v5, v1, 0
	s_delay_alu instid0(VALU_DEP_1) | instskip(SKIP_1) | instid1(VALU_DEP_2)
	v_add3_u32 v4, v4, v7, v6
	v_mad_i64_i32 v[5:6], null, v1, s3, 0
	v_lshrrev_b64 v[3:4], 1, v[3:4]
	s_delay_alu instid0(VALU_DEP_1) | instskip(NEXT) | instid1(VALU_DEP_2)
	v_sub_co_u32 v3, vcc_lo, v5, v3
	v_sub_co_ci_u32_e32 v4, vcc_lo, v6, v4, vcc_lo
	s_delay_alu instid0(VALU_DEP_1) | instskip(NEXT) | instid1(VALU_DEP_1)
	v_lshlrev_b64 v[3:4], 2, v[3:4]
	v_add_co_u32 v3, vcc_lo, s14, v3
	s_delay_alu instid0(VALU_DEP_2)
	v_add_co_ci_u32_e32 v4, vcc_lo, s18, v4, vcc_lo
	global_load_b32 v3, v[3:4], off
	s_waitcnt vmcnt(0)
	v_mul_f32_e32 v8, v0, v3
.LBB2_4:
	v_add_nc_u32_e32 v3, 1, v1
	s_mov_b32 s19, exec_lo
	s_delay_alu instid0(VALU_DEP_1)
	v_cmpx_gt_i32_e64 s3, v3
	s_cbranch_execz .LBB2_8
; %bb.5:
	v_add_co_u32 v4, vcc_lo, v1, -1
	v_add_co_ci_u32_e32 v5, vcc_lo, -1, v2, vcc_lo
	s_ashr_i32 s25, s3, 31
	s_add_u32 s2, s22, s12
	s_mov_b32 s24, s3
	s_addc_u32 s12, s23, s13
	v_mul_lo_u32 v7, v5, v1
	v_mul_lo_u32 v9, v4, v2
	v_mad_u64_u32 v[5:6], null, v4, v1, 0
	s_add_u32 s2, s2, s10
	s_addc_u32 s21, s12, s11
	s_lshl_b64 s[12:13], s[24:25], 2
	s_lshl_b64 s[10:11], s[26:27], 2
	v_ashrrev_i32_e32 v4, 31, v3
	s_add_u32 s12, s12, -4
	s_addc_u32 s13, s13, -1
	s_add_u32 s6, s8, s6
	s_addc_u32 s7, s9, s7
	v_mul_lo_u32 v15, s27, v3
	v_mul_lo_u32 v16, s26, v4
	v_add3_u32 v6, v6, v9, v7
	v_mad_u64_u32 v[9:10], null, s26, v3, 0
	v_mad_u64_u32 v[11:12], null, s12, v1, s[6:7]
	v_mul_lo_u32 v7, s12, v2
	v_mul_lo_u32 v17, s13, v1
	v_lshlrev_b64 v[5:6], 1, v[5:6]
	v_lshlrev_b64 v[13:14], 2, v[3:4]
	v_add3_u32 v10, v10, v16, v15
	s_mov_b32 s6, 0
	s_delay_alu instid0(VALU_DEP_4) | instskip(NEXT) | instid1(VALU_DEP_4)
	v_add3_u32 v4, v17, v12, v7
	v_and_b32_e32 v7, -4, v5
	s_delay_alu instid0(VALU_DEP_4) | instskip(NEXT) | instid1(VALU_DEP_3)
	v_add_co_u32 v11, vcc_lo, v11, v13
	v_add_co_ci_u32_e32 v12, vcc_lo, v4, v14, vcc_lo
	v_lshlrev_b64 v[4:5], 2, v[9:10]
	s_delay_alu instid0(VALU_DEP_3) | instskip(NEXT) | instid1(VALU_DEP_3)
	v_sub_co_u32 v7, vcc_lo, v11, v7
	v_sub_co_ci_u32_e32 v9, vcc_lo, v12, v6, vcc_lo
	s_delay_alu instid0(VALU_DEP_3) | instskip(NEXT) | instid1(VALU_DEP_4)
	v_add_co_u32 v4, vcc_lo, s2, v4
	v_add_co_ci_u32_e32 v5, vcc_lo, s21, v5, vcc_lo
	s_delay_alu instid0(VALU_DEP_4) | instskip(NEXT) | instid1(VALU_DEP_4)
	v_add_co_u32 v6, vcc_lo, s16, v7
	v_add_co_ci_u32_e32 v7, vcc_lo, s17, v9, vcc_lo
	.p2align	6
.LBB2_6:                                ; =>This Inner Loop Header: Depth=1
	global_load_b32 v9, v[6:7], off
	global_load_b32 v10, v[4:5], off
	v_add_nc_u32_e32 v3, 1, v3
	v_add_co_u32 v4, vcc_lo, v4, s10
	v_add_co_ci_u32_e32 v5, vcc_lo, s11, v5, vcc_lo
	v_add_co_u32 v6, vcc_lo, v6, 4
	v_add_co_ci_u32_e32 v7, vcc_lo, 0, v7, vcc_lo
	s_waitcnt vmcnt(0)
	v_fmac_f32_e32 v8, v9, v10
	v_cmp_le_i32_e64 s2, s3, v3
	s_delay_alu instid0(VALU_DEP_1) | instskip(NEXT) | instid1(SALU_CYCLE_1)
	s_or_b32 s6, s2, s6
	s_and_not1_b32 exec_lo, exec_lo, s6
	s_cbranch_execnz .LBB2_6
; %bb.7:
	s_or_b32 exec_lo, exec_lo, s6
.LBB2_8:
	s_delay_alu instid0(SALU_CYCLE_1)
	s_or_b32 exec_lo, exec_lo, s19
	s_branch .LBB2_17
.LBB2_9:
                                        ; implicit-def: $vgpr8
	s_and_b32 vcc_lo, exec_lo, s2
	s_cbranch_vccz .LBB2_17
; %bb.10:
	v_add_nc_u32_e32 v3, 1, v1
	s_and_not1_b32 vcc_lo, exec_lo, s20
	s_cbranch_vccnz .LBB2_12
; %bb.11:
	s_delay_alu instid0(VALU_DEP_1) | instskip(SKIP_1) | instid1(VALU_DEP_2)
	v_mad_i64_i32 v[4:5], null, v3, v1, 0
	v_lshlrev_b64 v[6:7], 2, v[1:2]
	v_lshlrev_b64 v[4:5], 1, v[4:5]
	s_delay_alu instid0(VALU_DEP_1) | instskip(NEXT) | instid1(VALU_DEP_1)
	v_and_b32_e32 v4, -4, v4
	v_add_co_u32 v4, vcc_lo, s14, v4
	s_delay_alu instid0(VALU_DEP_3) | instskip(NEXT) | instid1(VALU_DEP_2)
	v_add_co_ci_u32_e32 v5, vcc_lo, s18, v5, vcc_lo
	v_add_co_u32 v4, vcc_lo, v4, v6
	s_delay_alu instid0(VALU_DEP_2)
	v_add_co_ci_u32_e32 v5, vcc_lo, v5, v7, vcc_lo
	global_load_b32 v4, v[4:5], off
	s_waitcnt vmcnt(0)
	v_mul_f32_e32 v0, v0, v4
.LBB2_12:
	s_mov_b32 s8, 0
	s_mov_b32 s3, exec_lo
	v_cmpx_lt_i32_e32 0, v1
	s_cbranch_execz .LBB2_16
; %bb.13:
	v_mad_u64_u32 v[4:5], null, v3, v1, 0
	s_lshl_b64 s[6:7], s[26:27], 2
	s_delay_alu instid0(VALU_DEP_1) | instskip(NEXT) | instid1(VALU_DEP_1)
	v_mad_u64_u32 v[6:7], null, v3, v2, v[5:6]
	v_mov_b32_e32 v5, v6
	s_delay_alu instid0(VALU_DEP_1) | instskip(SKIP_1) | instid1(VALU_DEP_2)
	v_lshlrev_b64 v[3:4], 1, v[4:5]
	v_mov_b32_e32 v5, v1
	v_and_b32_e32 v3, -4, v3
	s_delay_alu instid0(VALU_DEP_1) | instskip(NEXT) | instid1(VALU_DEP_4)
	v_add_co_u32 v3, vcc_lo, s14, v3
	v_add_co_ci_u32_e32 v4, vcc_lo, s18, v4, vcc_lo
.LBB2_14:                               ; =>This Inner Loop Header: Depth=1
	global_load_b32 v6, v[3:4], off
	s_load_b32 s9, s[4:5], 0x0
	v_add_nc_u32_e32 v5, -1, v5
	v_add_co_u32 v3, vcc_lo, v3, 4
	v_add_co_ci_u32_e32 v4, vcc_lo, 0, v4, vcc_lo
	s_add_u32 s4, s4, s6
	s_addc_u32 s5, s5, s7
	s_waitcnt vmcnt(0) lgkmcnt(0)
	v_fmac_f32_e32 v0, s9, v6
	v_cmp_eq_u32_e64 s2, 0, v5
	s_delay_alu instid0(VALU_DEP_1) | instskip(NEXT) | instid1(SALU_CYCLE_1)
	s_or_b32 s8, s2, s8
	s_and_not1_b32 exec_lo, exec_lo, s8
	s_cbranch_execnz .LBB2_14
; %bb.15:
	s_or_b32 exec_lo, exec_lo, s8
.LBB2_16:
	s_delay_alu instid0(SALU_CYCLE_1)
	s_or_b32 exec_lo, exec_lo, s3
	s_waitcnt vmcnt(0)
	v_mov_b32_e32 v8, v0
.LBB2_17:
	s_load_b64 s[0:1], s[0:1], 0x48
	s_waitcnt vmcnt(0)
	v_lshlrev_b64 v[0:1], 2, v[1:2]
	s_waitcnt lgkmcnt(0)
	s_mul_i32 s1, s15, s1
	s_mul_hi_u32 s2, s15, s0
	s_mul_i32 s0, s15, s0
	s_add_i32 s1, s2, s1
	s_delay_alu instid0(SALU_CYCLE_1) | instskip(NEXT) | instid1(SALU_CYCLE_1)
	s_lshl_b64 s[0:1], s[0:1], 2
	s_add_u32 s0, s30, s0
	s_addc_u32 s1, s31, s1
	v_add_co_u32 v0, vcc_lo, s0, v0
	v_add_co_ci_u32_e32 v1, vcc_lo, s1, v1, vcc_lo
	global_store_b32 v[0:1], v8, off
.LBB2_18:
	s_nop 0
	s_sendmsg sendmsg(MSG_DEALLOC_VGPRS)
	s_endpgm
	.section	.rodata,"a",@progbits
	.p2align	6, 0x0
	.amdhsa_kernel _ZL20rocblas_tpmvc_kernelILi512EPKfPfS2_EvbbiT0_llT1_lllT2_li
		.amdhsa_group_segment_fixed_size 0
		.amdhsa_private_segment_fixed_size 0
		.amdhsa_kernarg_size 344
		.amdhsa_user_sgpr_count 14
		.amdhsa_user_sgpr_dispatch_ptr 0
		.amdhsa_user_sgpr_queue_ptr 0
		.amdhsa_user_sgpr_kernarg_segment_ptr 1
		.amdhsa_user_sgpr_dispatch_id 0
		.amdhsa_user_sgpr_private_segment_size 0
		.amdhsa_wavefront_size32 1
		.amdhsa_uses_dynamic_stack 0
		.amdhsa_enable_private_segment 0
		.amdhsa_system_sgpr_workgroup_id_x 1
		.amdhsa_system_sgpr_workgroup_id_y 0
		.amdhsa_system_sgpr_workgroup_id_z 1
		.amdhsa_system_sgpr_workgroup_info 0
		.amdhsa_system_vgpr_workitem_id 0
		.amdhsa_next_free_vgpr 18
		.amdhsa_next_free_sgpr 34
		.amdhsa_reserve_vcc 1
		.amdhsa_float_round_mode_32 0
		.amdhsa_float_round_mode_16_64 0
		.amdhsa_float_denorm_mode_32 3
		.amdhsa_float_denorm_mode_16_64 3
		.amdhsa_dx10_clamp 1
		.amdhsa_ieee_mode 1
		.amdhsa_fp16_overflow 0
		.amdhsa_workgroup_processor_mode 1
		.amdhsa_memory_ordered 1
		.amdhsa_forward_progress 0
		.amdhsa_shared_vgpr_count 0
		.amdhsa_exception_fp_ieee_invalid_op 0
		.amdhsa_exception_fp_denorm_src 0
		.amdhsa_exception_fp_ieee_div_zero 0
		.amdhsa_exception_fp_ieee_overflow 0
		.amdhsa_exception_fp_ieee_underflow 0
		.amdhsa_exception_fp_ieee_inexact 0
		.amdhsa_exception_int_div_zero 0
	.end_amdhsa_kernel
	.section	.text._ZL20rocblas_tpmvc_kernelILi512EPKfPfS2_EvbbiT0_llT1_lllT2_li,"axG",@progbits,_ZL20rocblas_tpmvc_kernelILi512EPKfPfS2_EvbbiT0_llT1_lllT2_li,comdat
.Lfunc_end2:
	.size	_ZL20rocblas_tpmvc_kernelILi512EPKfPfS2_EvbbiT0_llT1_lllT2_li, .Lfunc_end2-_ZL20rocblas_tpmvc_kernelILi512EPKfPfS2_EvbbiT0_llT1_lllT2_li
                                        ; -- End function
	.section	.AMDGPU.csdata,"",@progbits
; Kernel info:
; codeLenInByte = 1160
; NumSgprs: 36
; NumVgprs: 18
; ScratchSize: 0
; MemoryBound: 0
; FloatMode: 240
; IeeeMode: 1
; LDSByteSize: 0 bytes/workgroup (compile time only)
; SGPRBlocks: 4
; VGPRBlocks: 2
; NumSGPRsForWavesPerEU: 36
; NumVGPRsForWavesPerEU: 18
; Occupancy: 16
; WaveLimiterHint : 0
; COMPUTE_PGM_RSRC2:SCRATCH_EN: 0
; COMPUTE_PGM_RSRC2:USER_SGPR: 14
; COMPUTE_PGM_RSRC2:TRAP_HANDLER: 0
; COMPUTE_PGM_RSRC2:TGID_X_EN: 1
; COMPUTE_PGM_RSRC2:TGID_Y_EN: 0
; COMPUTE_PGM_RSRC2:TGID_Z_EN: 1
; COMPUTE_PGM_RSRC2:TIDIG_COMP_CNT: 0
	.section	.text._ZL20rocblas_tpmvn_kernelILi512EPKdPdS2_EvbbiT0_llT1_lllT2_li,"axG",@progbits,_ZL20rocblas_tpmvn_kernelILi512EPKdPdS2_EvbbiT0_llT1_lllT2_li,comdat
	.globl	_ZL20rocblas_tpmvn_kernelILi512EPKdPdS2_EvbbiT0_llT1_lllT2_li ; -- Begin function _ZL20rocblas_tpmvn_kernelILi512EPKdPdS2_EvbbiT0_llT1_lllT2_li
	.p2align	8
	.type	_ZL20rocblas_tpmvn_kernelILi512EPKdPdS2_EvbbiT0_llT1_lllT2_li,@function
_ZL20rocblas_tpmvn_kernelILi512EPKdPdS2_EvbbiT0_llT1_lllT2_li: ; @_ZL20rocblas_tpmvn_kernelILi512EPKdPdS2_EvbbiT0_llT1_lllT2_li
; %bb.0:
	s_clause 0x1
	s_load_b32 s4, s[0:1], 0x64
	s_load_b64 s[2:3], s[0:1], 0x0
	s_waitcnt lgkmcnt(0)
	s_and_b32 s4, s4, 0xffff
	s_delay_alu instid0(SALU_CYCLE_1) | instskip(SKIP_1) | instid1(VALU_DEP_1)
	v_mad_u64_u32 v[1:2], null, s14, s4, v[0:1]
	s_mov_b32 s4, exec_lo
	v_cmpx_gt_i32_e64 s3, v1
	s_cbranch_execz .LBB3_18
; %bb.1:
	s_clause 0x1
	s_load_b32 s4, s[0:1], 0x0
	s_load_b512 s[16:31], s[0:1], 0x8
	v_ashrrev_i32_e32 v2, 31, v1
	s_waitcnt lgkmcnt(0)
	s_and_b32 s33, s4, 1
	s_mul_i32 s5, s15, s21
	s_mul_hi_u32 s6, s15, s20
	v_mul_lo_u32 v0, v1, s27
	v_mul_lo_u32 v5, v2, s26
	s_bitcmp1_b32 s2, 8
	v_mad_u64_u32 v[3:4], null, v1, s26, 0
	s_mul_i32 s4, s15, s20
	s_cselect_b32 s2, -1, 0
	s_add_i32 s5, s6, s5
	s_xor_b32 s20, s2, -1
	s_lshl_b64 s[10:11], s[4:5], 3
	s_mul_i32 s7, s15, s29
	s_add_u32 s2, s16, s10
	s_addc_u32 s4, s17, s11
	s_lshl_b64 s[12:13], s[18:19], 3
	s_mul_hi_u32 s8, s15, s28
	v_add3_u32 v4, v4, v0, v5
	s_add_u32 s2, s2, s12
	s_mul_i32 s6, s15, s28
	s_addc_u32 s14, s4, s13
	s_add_i32 s7, s8, s7
	v_lshlrev_b64 v[3:4], 3, v[3:4]
	s_lshl_b64 s[4:5], s[6:7], 3
	v_cndmask_b32_e64 v0, 0, 1, s20
	s_add_u32 s8, s22, s4
	s_addc_u32 s9, s23, s5
	s_lshl_b64 s[6:7], s[24:25], 3
	s_mov_b32 s21, -1
	s_add_u32 s8, s8, s6
	s_addc_u32 s9, s9, s7
	v_add_co_u32 v3, vcc_lo, s8, v3
	v_add_co_ci_u32_e32 v4, vcc_lo, s9, v4, vcc_lo
	v_cmp_ne_u32_e32 vcc_lo, 1, v0
	s_cmp_eq_u32 s33, 0
	global_load_b64 v[3:4], v[3:4], off
	s_cbranch_scc0 .LBB3_9
; %bb.2:
	s_waitcnt vmcnt(0)
	v_dual_mov_b32 v6, v4 :: v_dual_mov_b32 v5, v3
	s_and_b32 vcc_lo, exec_lo, vcc_lo
	s_cbranch_vccnz .LBB3_4
; %bb.3:
	v_add_co_u32 v0, vcc_lo, v1, -1
	v_add_co_ci_u32_e32 v5, vcc_lo, -1, v2, vcc_lo
	s_delay_alu instid0(VALU_DEP_2) | instskip(NEXT) | instid1(VALU_DEP_2)
	v_mul_lo_u32 v8, v0, v2
	v_mul_lo_u32 v7, v5, v1
	v_mad_u64_u32 v[5:6], null, v0, v1, 0
	s_delay_alu instid0(VALU_DEP_1) | instskip(SKIP_1) | instid1(VALU_DEP_2)
	v_add3_u32 v6, v6, v8, v7
	v_mad_i64_i32 v[7:8], null, v1, s3, 0
	v_lshrrev_b64 v[5:6], 1, v[5:6]
	s_delay_alu instid0(VALU_DEP_1) | instskip(NEXT) | instid1(VALU_DEP_2)
	v_sub_co_u32 v5, vcc_lo, v7, v5
	v_sub_co_ci_u32_e32 v6, vcc_lo, v8, v6, vcc_lo
	s_delay_alu instid0(VALU_DEP_1) | instskip(NEXT) | instid1(VALU_DEP_1)
	v_lshlrev_b64 v[5:6], 3, v[5:6]
	v_add_co_u32 v5, vcc_lo, s2, v5
	s_delay_alu instid0(VALU_DEP_2)
	v_add_co_ci_u32_e32 v6, vcc_lo, s14, v6, vcc_lo
	global_load_b64 v[5:6], v[5:6], off
	s_waitcnt vmcnt(0)
	v_mul_f64 v[5:6], v[3:4], v[5:6]
.LBB3_4:
	s_mov_b32 s21, 0
	s_mov_b32 s24, exec_lo
	v_cmpx_lt_i32_e32 0, v1
	s_cbranch_execz .LBB3_8
; %bb.5:
	v_lshlrev_b64 v[7:8], 3, v[1:2]
	s_ashr_i32 s19, s3, 31
	s_add_u32 s10, s10, s12
	s_addc_u32 s11, s11, s13
	s_add_u32 s12, s16, s10
	s_mov_b32 s18, s3
	s_addc_u32 s13, s17, s11
	v_add_co_u32 v0, vcc_lo, s12, v7
	s_lshl_b64 s[10:11], s[18:19], 3
	v_add_co_ci_u32_e32 v7, vcc_lo, s13, v8, vcc_lo
	s_add_u32 s25, s10, -8
	s_addc_u32 s28, s11, -1
	s_lshl_b64 s[10:11], s[26:27], 3
	s_mov_b64 s[12:13], 0
	s_mov_b32 s29, 0
	s_mov_b64 s[18:19], 0
	s_mov_b64 s[16:17], 0
	.p2align	6
.LBB3_6:                                ; =>This Inner Loop Header: Depth=1
	s_lshl_b64 s[34:35], s[12:13], 2
	s_delay_alu instid0(SALU_CYCLE_1)
	s_and_b32 s33, s34, -8
	s_add_u32 s16, s16, 1
	v_sub_co_u32 v8, vcc_lo, v0, s33
	v_subrev_co_ci_u32_e32 v9, vcc_lo, s35, v7, vcc_lo
	s_load_b64 s[34:35], s[8:9], 0x0
	v_add_co_u32 v0, vcc_lo, v0, s25
	global_load_b64 v[8:9], v[8:9], off
	s_addc_u32 s17, s17, 0
	v_add_co_ci_u32_e32 v7, vcc_lo, s28, v7, vcc_lo
	v_cmp_eq_u32_e32 vcc_lo, s16, v1
	s_waitcnt vmcnt(0) lgkmcnt(0)
	v_fma_f64 v[5:6], v[8:9], s[34:35], v[5:6]
	s_add_u32 s34, s18, 2
	s_addc_u32 s35, s19, 0
	s_add_u32 s12, s12, s18
	s_addc_u32 s13, s13, s19
	;; [unrolled: 2-line block ×3, first 2 shown]
	s_or_b32 s29, vcc_lo, s29
	s_mov_b64 s[18:19], s[34:35]
	s_and_not1_b32 exec_lo, exec_lo, s29
	s_cbranch_execnz .LBB3_6
; %bb.7:
	s_or_b32 exec_lo, exec_lo, s29
.LBB3_8:
	s_delay_alu instid0(SALU_CYCLE_1) | instskip(NEXT) | instid1(SALU_CYCLE_1)
	s_or_b32 exec_lo, exec_lo, s24
	s_and_b32 vcc_lo, exec_lo, s21
	s_cbranch_vccnz .LBB3_10
	s_branch .LBB3_17
.LBB3_9:
                                        ; implicit-def: $vgpr5_vgpr6
	s_and_b32 vcc_lo, exec_lo, s21
	s_cbranch_vccz .LBB3_17
.LBB3_10:
	v_add_nc_u32_e32 v5, 1, v1
	s_and_not1_b32 vcc_lo, exec_lo, s20
	s_cbranch_vccnz .LBB3_12
; %bb.11:
	s_delay_alu instid0(VALU_DEP_1) | instskip(SKIP_1) | instid1(VALU_DEP_2)
	v_mad_i64_i32 v[6:7], null, v5, v1, 0
	v_lshlrev_b64 v[8:9], 3, v[1:2]
	v_lshlrev_b64 v[6:7], 2, v[6:7]
	s_delay_alu instid0(VALU_DEP_1) | instskip(NEXT) | instid1(VALU_DEP_1)
	v_and_b32_e32 v0, -8, v6
	v_add_co_u32 v0, vcc_lo, s2, v0
	s_delay_alu instid0(VALU_DEP_3) | instskip(NEXT) | instid1(VALU_DEP_2)
	v_add_co_ci_u32_e32 v7, vcc_lo, s14, v7, vcc_lo
	v_add_co_u32 v6, vcc_lo, v0, v8
	s_delay_alu instid0(VALU_DEP_2)
	v_add_co_ci_u32_e32 v7, vcc_lo, v7, v9, vcc_lo
	global_load_b64 v[6:7], v[6:7], off
	s_waitcnt vmcnt(0)
	v_mul_f64 v[3:4], v[3:4], v[6:7]
.LBB3_12:
	s_mov_b32 s8, exec_lo
	s_delay_alu instid0(VALU_DEP_1)
	v_cmpx_gt_i32_e64 s3, v5
	s_cbranch_execz .LBB3_16
; %bb.13:
	v_ashrrev_i32_e32 v6, 31, v5
	v_mul_lo_u32 v9, s27, v5
	v_mad_u64_u32 v[7:8], null, s26, v5, 0
	v_lshlrev_b64 v[10:11], 3, v[1:2]
	s_delay_alu instid0(VALU_DEP_4)
	v_mul_lo_u32 v12, s26, v6
	s_add_u32 s6, s22, s6
	v_add_nc_u32_e32 v0, 2, v1
	s_addc_u32 s7, s23, s7
	s_add_u32 s4, s6, s4
	v_add_co_u32 v10, vcc_lo, s2, v10
	v_add_co_ci_u32_e32 v11, vcc_lo, s14, v11, vcc_lo
	s_delay_alu instid0(VALU_DEP_4) | instskip(SKIP_3) | instid1(VALU_DEP_2)
	v_add3_u32 v8, v8, v12, v9
	s_addc_u32 s5, s7, s5
	v_ashrrev_i32_e32 v9, 31, v0
	s_mov_b32 s6, 0
	v_lshlrev_b64 v[7:8], 3, v[7:8]
	s_delay_alu instid0(VALU_DEP_1) | instskip(NEXT) | instid1(VALU_DEP_2)
	v_add_co_u32 v7, vcc_lo, s4, v7
	v_add_co_ci_u32_e32 v8, vcc_lo, s5, v8, vcc_lo
	s_lshl_b64 s[4:5], s[26:27], 3
	s_set_inst_prefetch_distance 0x1
	.p2align	6
.LBB3_14:                               ; =>This Inner Loop Header: Depth=1
	v_mul_lo_u32 v14, v9, v5
	v_mul_lo_u32 v15, v0, v6
	v_mad_u64_u32 v[12:13], null, v0, v5, 0
	s_delay_alu instid0(VALU_DEP_1) | instskip(NEXT) | instid1(VALU_DEP_1)
	v_add3_u32 v13, v13, v15, v14
	v_lshlrev_b64 v[12:13], 2, v[12:13]
	s_delay_alu instid0(VALU_DEP_1) | instskip(NEXT) | instid1(VALU_DEP_1)
	v_and_b32_e32 v12, -8, v12
	v_add_co_u32 v12, vcc_lo, v10, v12
	s_delay_alu instid0(VALU_DEP_3)
	v_add_co_ci_u32_e32 v13, vcc_lo, v11, v13, vcc_lo
	global_load_b64 v[14:15], v[7:8], off
	global_load_b64 v[12:13], v[12:13], off
	v_add_co_u32 v5, vcc_lo, v5, 1
	v_add_co_ci_u32_e32 v6, vcc_lo, 0, v6, vcc_lo
	v_add_co_u32 v0, vcc_lo, v0, 1
	v_add_co_ci_u32_e32 v9, vcc_lo, 0, v9, vcc_lo
	v_add_co_u32 v7, vcc_lo, v7, s4
	v_cmp_le_i32_e64 s2, s3, v5
	v_add_co_ci_u32_e32 v8, vcc_lo, s5, v8, vcc_lo
	s_delay_alu instid0(VALU_DEP_2)
	s_or_b32 s6, s2, s6
	s_waitcnt vmcnt(0)
	v_fma_f64 v[3:4], v[12:13], v[14:15], v[3:4]
	s_and_not1_b32 exec_lo, exec_lo, s6
	s_cbranch_execnz .LBB3_14
; %bb.15:
	s_set_inst_prefetch_distance 0x2
	s_or_b32 exec_lo, exec_lo, s6
.LBB3_16:
	s_delay_alu instid0(SALU_CYCLE_1) | instskip(SKIP_1) | instid1(VALU_DEP_1)
	s_or_b32 exec_lo, exec_lo, s8
	s_waitcnt vmcnt(0)
	v_dual_mov_b32 v6, v4 :: v_dual_mov_b32 v5, v3
.LBB3_17:
	s_load_b64 s[0:1], s[0:1], 0x48
	v_lshlrev_b64 v[0:1], 3, v[1:2]
	s_waitcnt lgkmcnt(0)
	s_mul_i32 s1, s15, s1
	s_mul_hi_u32 s2, s15, s0
	s_mul_i32 s0, s15, s0
	s_add_i32 s1, s2, s1
	s_delay_alu instid0(SALU_CYCLE_1) | instskip(NEXT) | instid1(SALU_CYCLE_1)
	s_lshl_b64 s[0:1], s[0:1], 3
	s_add_u32 s0, s30, s0
	s_addc_u32 s1, s31, s1
	v_add_co_u32 v0, vcc_lo, s0, v0
	v_add_co_ci_u32_e32 v1, vcc_lo, s1, v1, vcc_lo
	global_store_b64 v[0:1], v[5:6], off
.LBB3_18:
	s_nop 0
	s_sendmsg sendmsg(MSG_DEALLOC_VGPRS)
	s_endpgm
	.section	.rodata,"a",@progbits
	.p2align	6, 0x0
	.amdhsa_kernel _ZL20rocblas_tpmvn_kernelILi512EPKdPdS2_EvbbiT0_llT1_lllT2_li
		.amdhsa_group_segment_fixed_size 0
		.amdhsa_private_segment_fixed_size 0
		.amdhsa_kernarg_size 344
		.amdhsa_user_sgpr_count 14
		.amdhsa_user_sgpr_dispatch_ptr 0
		.amdhsa_user_sgpr_queue_ptr 0
		.amdhsa_user_sgpr_kernarg_segment_ptr 1
		.amdhsa_user_sgpr_dispatch_id 0
		.amdhsa_user_sgpr_private_segment_size 0
		.amdhsa_wavefront_size32 1
		.amdhsa_uses_dynamic_stack 0
		.amdhsa_enable_private_segment 0
		.amdhsa_system_sgpr_workgroup_id_x 1
		.amdhsa_system_sgpr_workgroup_id_y 0
		.amdhsa_system_sgpr_workgroup_id_z 1
		.amdhsa_system_sgpr_workgroup_info 0
		.amdhsa_system_vgpr_workitem_id 0
		.amdhsa_next_free_vgpr 16
		.amdhsa_next_free_sgpr 36
		.amdhsa_reserve_vcc 1
		.amdhsa_float_round_mode_32 0
		.amdhsa_float_round_mode_16_64 0
		.amdhsa_float_denorm_mode_32 3
		.amdhsa_float_denorm_mode_16_64 3
		.amdhsa_dx10_clamp 1
		.amdhsa_ieee_mode 1
		.amdhsa_fp16_overflow 0
		.amdhsa_workgroup_processor_mode 1
		.amdhsa_memory_ordered 1
		.amdhsa_forward_progress 0
		.amdhsa_shared_vgpr_count 0
		.amdhsa_exception_fp_ieee_invalid_op 0
		.amdhsa_exception_fp_denorm_src 0
		.amdhsa_exception_fp_ieee_div_zero 0
		.amdhsa_exception_fp_ieee_overflow 0
		.amdhsa_exception_fp_ieee_underflow 0
		.amdhsa_exception_fp_ieee_inexact 0
		.amdhsa_exception_int_div_zero 0
	.end_amdhsa_kernel
	.section	.text._ZL20rocblas_tpmvn_kernelILi512EPKdPdS2_EvbbiT0_llT1_lllT2_li,"axG",@progbits,_ZL20rocblas_tpmvn_kernelILi512EPKdPdS2_EvbbiT0_llT1_lllT2_li,comdat
.Lfunc_end3:
	.size	_ZL20rocblas_tpmvn_kernelILi512EPKdPdS2_EvbbiT0_llT1_lllT2_li, .Lfunc_end3-_ZL20rocblas_tpmvn_kernelILi512EPKdPdS2_EvbbiT0_llT1_lllT2_li
                                        ; -- End function
	.section	.AMDGPU.csdata,"",@progbits
; Kernel info:
; codeLenInByte = 1172
; NumSgprs: 38
; NumVgprs: 16
; ScratchSize: 0
; MemoryBound: 0
; FloatMode: 240
; IeeeMode: 1
; LDSByteSize: 0 bytes/workgroup (compile time only)
; SGPRBlocks: 4
; VGPRBlocks: 1
; NumSGPRsForWavesPerEU: 38
; NumVGPRsForWavesPerEU: 16
; Occupancy: 16
; WaveLimiterHint : 0
; COMPUTE_PGM_RSRC2:SCRATCH_EN: 0
; COMPUTE_PGM_RSRC2:USER_SGPR: 14
; COMPUTE_PGM_RSRC2:TRAP_HANDLER: 0
; COMPUTE_PGM_RSRC2:TGID_X_EN: 1
; COMPUTE_PGM_RSRC2:TGID_Y_EN: 0
; COMPUTE_PGM_RSRC2:TGID_Z_EN: 1
; COMPUTE_PGM_RSRC2:TIDIG_COMP_CNT: 0
	.section	.text._ZL20rocblas_tpmvt_kernelILi512EPKdPdS2_EvbbiT0_llT1_lllT2_li,"axG",@progbits,_ZL20rocblas_tpmvt_kernelILi512EPKdPdS2_EvbbiT0_llT1_lllT2_li,comdat
	.globl	_ZL20rocblas_tpmvt_kernelILi512EPKdPdS2_EvbbiT0_llT1_lllT2_li ; -- Begin function _ZL20rocblas_tpmvt_kernelILi512EPKdPdS2_EvbbiT0_llT1_lllT2_li
	.p2align	8
	.type	_ZL20rocblas_tpmvt_kernelILi512EPKdPdS2_EvbbiT0_llT1_lllT2_li,@function
_ZL20rocblas_tpmvt_kernelILi512EPKdPdS2_EvbbiT0_llT1_lllT2_li: ; @_ZL20rocblas_tpmvt_kernelILi512EPKdPdS2_EvbbiT0_llT1_lllT2_li
; %bb.0:
	s_clause 0x1
	s_load_b32 s4, s[0:1], 0x64
	s_load_b64 s[2:3], s[0:1], 0x0
	s_waitcnt lgkmcnt(0)
	s_and_b32 s4, s4, 0xffff
	s_delay_alu instid0(SALU_CYCLE_1) | instskip(SKIP_1) | instid1(VALU_DEP_1)
	v_mad_u64_u32 v[1:2], null, s14, s4, v[0:1]
	s_mov_b32 s4, exec_lo
	v_cmpx_gt_i32_e64 s3, v1
	s_cbranch_execz .LBB4_18
; %bb.1:
	s_clause 0x1
	s_load_b32 s4, s[0:1], 0x0
	s_load_b512 s[16:31], s[0:1], 0x8
	v_ashrrev_i32_e32 v2, 31, v1
	s_waitcnt lgkmcnt(0)
	s_and_b32 s33, s4, 1
	s_mul_i32 s5, s15, s21
	s_mul_hi_u32 s6, s15, s20
	v_mul_lo_u32 v0, v1, s27
	v_mul_lo_u32 v5, v2, s26
	s_bitcmp1_b32 s2, 8
	v_mad_u64_u32 v[3:4], null, v1, s26, 0
	s_mul_i32 s4, s15, s20
	s_cselect_b32 s2, -1, 0
	s_add_i32 s5, s6, s5
	s_xor_b32 s20, s2, -1
	s_lshl_b64 s[6:7], s[4:5], 3
	s_mul_i32 s11, s15, s29
	s_add_u32 s2, s16, s6
	s_addc_u32 s4, s17, s7
	s_lshl_b64 s[8:9], s[18:19], 3
	s_mul_hi_u32 s12, s15, s28
	v_add3_u32 v4, v4, v0, v5
	s_add_u32 s14, s2, s8
	s_mul_i32 s10, s15, s28
	s_addc_u32 s18, s4, s9
	s_add_i32 s11, s12, s11
	v_lshlrev_b64 v[3:4], 3, v[3:4]
	s_lshl_b64 s[10:11], s[10:11], 3
	v_cndmask_b32_e64 v0, 0, 1, s20
	s_add_u32 s2, s22, s10
	s_addc_u32 s5, s23, s11
	s_lshl_b64 s[12:13], s[24:25], 3
	s_delay_alu instid0(SALU_CYCLE_1)
	s_add_u32 s4, s2, s12
	s_addc_u32 s5, s5, s13
	v_add_co_u32 v3, vcc_lo, s4, v3
	v_add_co_ci_u32_e32 v4, vcc_lo, s5, v4, vcc_lo
	v_cmp_ne_u32_e32 vcc_lo, 1, v0
	s_cmp_eq_u32 s33, 0
	s_mov_b32 s2, -1
	global_load_b64 v[3:4], v[3:4], off
	s_cbranch_scc0 .LBB4_9
; %bb.2:
	s_waitcnt vmcnt(0)
	v_dual_mov_b32 v6, v4 :: v_dual_mov_b32 v5, v3
	s_and_b32 vcc_lo, exec_lo, vcc_lo
	s_cbranch_vccnz .LBB4_4
; %bb.3:
	v_add_co_u32 v0, vcc_lo, v1, -1
	v_add_co_ci_u32_e32 v5, vcc_lo, -1, v2, vcc_lo
	s_delay_alu instid0(VALU_DEP_2) | instskip(NEXT) | instid1(VALU_DEP_2)
	v_mul_lo_u32 v8, v0, v2
	v_mul_lo_u32 v7, v5, v1
	v_mad_u64_u32 v[5:6], null, v0, v1, 0
	s_delay_alu instid0(VALU_DEP_1) | instskip(SKIP_1) | instid1(VALU_DEP_2)
	v_add3_u32 v6, v6, v8, v7
	v_mad_i64_i32 v[7:8], null, v1, s3, 0
	v_lshrrev_b64 v[5:6], 1, v[5:6]
	s_delay_alu instid0(VALU_DEP_1) | instskip(NEXT) | instid1(VALU_DEP_2)
	v_sub_co_u32 v5, vcc_lo, v7, v5
	v_sub_co_ci_u32_e32 v6, vcc_lo, v8, v6, vcc_lo
	s_delay_alu instid0(VALU_DEP_1) | instskip(NEXT) | instid1(VALU_DEP_1)
	v_lshlrev_b64 v[5:6], 3, v[5:6]
	v_add_co_u32 v5, vcc_lo, s14, v5
	s_delay_alu instid0(VALU_DEP_2)
	v_add_co_ci_u32_e32 v6, vcc_lo, s18, v6, vcc_lo
	global_load_b64 v[5:6], v[5:6], off
	s_waitcnt vmcnt(0)
	v_mul_f64 v[5:6], v[3:4], v[5:6]
.LBB4_4:
	v_add_nc_u32_e32 v7, 1, v1
	s_mov_b32 s19, exec_lo
	s_delay_alu instid0(VALU_DEP_1)
	v_cmpx_gt_i32_e64 s3, v7
	s_cbranch_execz .LBB4_8
; %bb.5:
	v_add_co_u32 v0, vcc_lo, v1, -1
	v_add_co_ci_u32_e32 v8, vcc_lo, -1, v2, vcc_lo
	s_ashr_i32 s25, s3, 31
	s_add_u32 s2, s22, s12
	s_mov_b32 s24, s3
	s_addc_u32 s12, s23, s13
	v_mul_lo_u32 v11, v8, v1
	v_mul_lo_u32 v12, v0, v2
	v_mad_u64_u32 v[9:10], null, v0, v1, 0
	s_add_u32 s2, s2, s10
	s_addc_u32 s21, s12, s11
	s_lshl_b64 s[12:13], s[24:25], 3
	s_lshl_b64 s[10:11], s[26:27], 3
	v_ashrrev_i32_e32 v8, 31, v7
	s_add_u32 s12, s12, -8
	s_addc_u32 s13, s13, -1
	s_add_u32 s6, s8, s6
	s_addc_u32 s7, s9, s7
	v_mul_lo_u32 v0, s27, v7
	v_mul_lo_u32 v17, s26, v8
	v_add3_u32 v10, v10, v12, v11
	v_mad_u64_u32 v[11:12], null, s26, v7, 0
	v_mad_u64_u32 v[13:14], null, s12, v1, s[6:7]
	v_mul_lo_u32 v18, s12, v2
	v_mul_lo_u32 v19, s13, v1
	v_lshlrev_b64 v[9:10], 2, v[9:10]
	v_lshlrev_b64 v[15:16], 3, v[7:8]
	v_add3_u32 v12, v12, v17, v0
	s_mov_b32 s6, 0
	s_delay_alu instid0(VALU_DEP_4) | instskip(NEXT) | instid1(VALU_DEP_4)
	v_add3_u32 v0, v19, v14, v18
	v_and_b32_e32 v14, -8, v9
	s_delay_alu instid0(VALU_DEP_4) | instskip(SKIP_1) | instid1(VALU_DEP_4)
	v_add_co_u32 v13, vcc_lo, v13, v15
	v_lshlrev_b64 v[8:9], 3, v[11:12]
	v_add_co_ci_u32_e32 v0, vcc_lo, v0, v16, vcc_lo
	s_delay_alu instid0(VALU_DEP_3) | instskip(NEXT) | instid1(VALU_DEP_2)
	v_sub_co_u32 v11, vcc_lo, v13, v14
	v_sub_co_ci_u32_e32 v0, vcc_lo, v0, v10, vcc_lo
	s_delay_alu instid0(VALU_DEP_4) | instskip(SKIP_1) | instid1(VALU_DEP_4)
	v_add_co_u32 v8, vcc_lo, s2, v8
	v_add_co_ci_u32_e32 v9, vcc_lo, s21, v9, vcc_lo
	v_add_co_u32 v10, vcc_lo, s16, v11
	s_delay_alu instid0(VALU_DEP_4)
	v_add_co_ci_u32_e32 v11, vcc_lo, s17, v0, vcc_lo
	.p2align	6
.LBB4_6:                                ; =>This Inner Loop Header: Depth=1
	global_load_b64 v[12:13], v[10:11], off
	global_load_b64 v[14:15], v[8:9], off
	v_add_nc_u32_e32 v7, 1, v7
	v_add_co_u32 v8, vcc_lo, v8, s10
	v_add_co_ci_u32_e32 v9, vcc_lo, s11, v9, vcc_lo
	s_delay_alu instid0(VALU_DEP_3) | instskip(SKIP_1) | instid1(VALU_DEP_1)
	v_cmp_le_i32_e32 vcc_lo, s3, v7
	v_add_co_u32 v10, s2, v10, 8
	v_add_co_ci_u32_e64 v11, s2, 0, v11, s2
	s_or_b32 s6, vcc_lo, s6
	s_waitcnt vmcnt(0)
	v_fma_f64 v[5:6], v[12:13], v[14:15], v[5:6]
	s_and_not1_b32 exec_lo, exec_lo, s6
	s_cbranch_execnz .LBB4_6
; %bb.7:
	s_or_b32 exec_lo, exec_lo, s6
.LBB4_8:
	s_delay_alu instid0(SALU_CYCLE_1)
	s_or_b32 exec_lo, exec_lo, s19
	s_branch .LBB4_17
.LBB4_9:
                                        ; implicit-def: $vgpr5_vgpr6
	s_and_b32 vcc_lo, exec_lo, s2
	s_cbranch_vccz .LBB4_17
; %bb.10:
	v_add_nc_u32_e32 v0, 1, v1
	s_and_not1_b32 vcc_lo, exec_lo, s20
	s_cbranch_vccnz .LBB4_12
; %bb.11:
	s_delay_alu instid0(VALU_DEP_1) | instskip(SKIP_1) | instid1(VALU_DEP_2)
	v_mad_i64_i32 v[5:6], null, v0, v1, 0
	v_lshlrev_b64 v[7:8], 3, v[1:2]
	v_lshlrev_b64 v[5:6], 2, v[5:6]
	s_delay_alu instid0(VALU_DEP_1) | instskip(NEXT) | instid1(VALU_DEP_1)
	v_and_b32_e32 v5, -8, v5
	v_add_co_u32 v5, vcc_lo, s14, v5
	s_delay_alu instid0(VALU_DEP_3) | instskip(NEXT) | instid1(VALU_DEP_2)
	v_add_co_ci_u32_e32 v6, vcc_lo, s18, v6, vcc_lo
	v_add_co_u32 v5, vcc_lo, v5, v7
	s_delay_alu instid0(VALU_DEP_2)
	v_add_co_ci_u32_e32 v6, vcc_lo, v6, v8, vcc_lo
	global_load_b64 v[5:6], v[5:6], off
	s_waitcnt vmcnt(0)
	v_mul_f64 v[3:4], v[3:4], v[5:6]
.LBB4_12:
	s_mov_b32 s8, 0
	s_mov_b32 s3, exec_lo
	v_cmpx_lt_i32_e32 0, v1
	s_cbranch_execz .LBB4_16
; %bb.13:
	v_mad_u64_u32 v[5:6], null, v0, v1, 0
	s_lshl_b64 s[6:7], s[26:27], 3
	s_delay_alu instid0(VALU_DEP_1) | instskip(NEXT) | instid1(VALU_DEP_1)
	v_mad_u64_u32 v[7:8], null, v0, v2, v[6:7]
	v_mov_b32_e32 v6, v7
	s_delay_alu instid0(VALU_DEP_1) | instskip(NEXT) | instid1(VALU_DEP_1)
	v_lshlrev_b64 v[5:6], 2, v[5:6]
	v_and_b32_e32 v0, -8, v5
	s_delay_alu instid0(VALU_DEP_1) | instskip(NEXT) | instid1(VALU_DEP_3)
	v_add_co_u32 v5, vcc_lo, s14, v0
	v_add_co_ci_u32_e32 v6, vcc_lo, s18, v6, vcc_lo
	v_mov_b32_e32 v0, v1
	.p2align	6
.LBB4_14:                               ; =>This Inner Loop Header: Depth=1
	global_load_b64 v[7:8], v[5:6], off
	s_load_b64 s[10:11], s[4:5], 0x0
	v_add_nc_u32_e32 v0, -1, v0
	v_add_co_u32 v5, vcc_lo, v5, 8
	v_add_co_ci_u32_e32 v6, vcc_lo, 0, v6, vcc_lo
	s_delay_alu instid0(VALU_DEP_3) | instskip(SKIP_2) | instid1(VALU_DEP_1)
	v_cmp_eq_u32_e64 s2, 0, v0
	s_add_u32 s4, s4, s6
	s_addc_u32 s5, s5, s7
	s_or_b32 s8, s2, s8
	s_waitcnt vmcnt(0) lgkmcnt(0)
	v_fma_f64 v[3:4], v[7:8], s[10:11], v[3:4]
	s_and_not1_b32 exec_lo, exec_lo, s8
	s_cbranch_execnz .LBB4_14
; %bb.15:
	s_or_b32 exec_lo, exec_lo, s8
.LBB4_16:
	s_delay_alu instid0(SALU_CYCLE_1) | instskip(SKIP_1) | instid1(VALU_DEP_1)
	s_or_b32 exec_lo, exec_lo, s3
	s_waitcnt vmcnt(0)
	v_dual_mov_b32 v6, v4 :: v_dual_mov_b32 v5, v3
.LBB4_17:
	s_load_b64 s[0:1], s[0:1], 0x48
	v_lshlrev_b64 v[0:1], 3, v[1:2]
	s_waitcnt lgkmcnt(0)
	s_mul_i32 s1, s15, s1
	s_mul_hi_u32 s2, s15, s0
	s_mul_i32 s0, s15, s0
	s_add_i32 s1, s2, s1
	s_delay_alu instid0(SALU_CYCLE_1) | instskip(NEXT) | instid1(SALU_CYCLE_1)
	s_lshl_b64 s[0:1], s[0:1], 3
	s_add_u32 s0, s30, s0
	s_addc_u32 s1, s31, s1
	v_add_co_u32 v0, vcc_lo, s0, v0
	v_add_co_ci_u32_e32 v1, vcc_lo, s1, v1, vcc_lo
	global_store_b64 v[0:1], v[5:6], off
.LBB4_18:
	s_nop 0
	s_sendmsg sendmsg(MSG_DEALLOC_VGPRS)
	s_endpgm
	.section	.rodata,"a",@progbits
	.p2align	6, 0x0
	.amdhsa_kernel _ZL20rocblas_tpmvt_kernelILi512EPKdPdS2_EvbbiT0_llT1_lllT2_li
		.amdhsa_group_segment_fixed_size 0
		.amdhsa_private_segment_fixed_size 0
		.amdhsa_kernarg_size 344
		.amdhsa_user_sgpr_count 14
		.amdhsa_user_sgpr_dispatch_ptr 0
		.amdhsa_user_sgpr_queue_ptr 0
		.amdhsa_user_sgpr_kernarg_segment_ptr 1
		.amdhsa_user_sgpr_dispatch_id 0
		.amdhsa_user_sgpr_private_segment_size 0
		.amdhsa_wavefront_size32 1
		.amdhsa_uses_dynamic_stack 0
		.amdhsa_enable_private_segment 0
		.amdhsa_system_sgpr_workgroup_id_x 1
		.amdhsa_system_sgpr_workgroup_id_y 0
		.amdhsa_system_sgpr_workgroup_id_z 1
		.amdhsa_system_sgpr_workgroup_info 0
		.amdhsa_system_vgpr_workitem_id 0
		.amdhsa_next_free_vgpr 20
		.amdhsa_next_free_sgpr 34
		.amdhsa_reserve_vcc 1
		.amdhsa_float_round_mode_32 0
		.amdhsa_float_round_mode_16_64 0
		.amdhsa_float_denorm_mode_32 3
		.amdhsa_float_denorm_mode_16_64 3
		.amdhsa_dx10_clamp 1
		.amdhsa_ieee_mode 1
		.amdhsa_fp16_overflow 0
		.amdhsa_workgroup_processor_mode 1
		.amdhsa_memory_ordered 1
		.amdhsa_forward_progress 0
		.amdhsa_shared_vgpr_count 0
		.amdhsa_exception_fp_ieee_invalid_op 0
		.amdhsa_exception_fp_denorm_src 0
		.amdhsa_exception_fp_ieee_div_zero 0
		.amdhsa_exception_fp_ieee_overflow 0
		.amdhsa_exception_fp_ieee_underflow 0
		.amdhsa_exception_fp_ieee_inexact 0
		.amdhsa_exception_int_div_zero 0
	.end_amdhsa_kernel
	.section	.text._ZL20rocblas_tpmvt_kernelILi512EPKdPdS2_EvbbiT0_llT1_lllT2_li,"axG",@progbits,_ZL20rocblas_tpmvt_kernelILi512EPKdPdS2_EvbbiT0_llT1_lllT2_li,comdat
.Lfunc_end4:
	.size	_ZL20rocblas_tpmvt_kernelILi512EPKdPdS2_EvbbiT0_llT1_lllT2_li, .Lfunc_end4-_ZL20rocblas_tpmvt_kernelILi512EPKdPdS2_EvbbiT0_llT1_lllT2_li
                                        ; -- End function
	.section	.AMDGPU.csdata,"",@progbits
; Kernel info:
; codeLenInByte = 1176
; NumSgprs: 36
; NumVgprs: 20
; ScratchSize: 0
; MemoryBound: 0
; FloatMode: 240
; IeeeMode: 1
; LDSByteSize: 0 bytes/workgroup (compile time only)
; SGPRBlocks: 4
; VGPRBlocks: 2
; NumSGPRsForWavesPerEU: 36
; NumVGPRsForWavesPerEU: 20
; Occupancy: 16
; WaveLimiterHint : 0
; COMPUTE_PGM_RSRC2:SCRATCH_EN: 0
; COMPUTE_PGM_RSRC2:USER_SGPR: 14
; COMPUTE_PGM_RSRC2:TRAP_HANDLER: 0
; COMPUTE_PGM_RSRC2:TGID_X_EN: 1
; COMPUTE_PGM_RSRC2:TGID_Y_EN: 0
; COMPUTE_PGM_RSRC2:TGID_Z_EN: 1
; COMPUTE_PGM_RSRC2:TIDIG_COMP_CNT: 0
	.section	.text._ZL20rocblas_tpmvc_kernelILi512EPKdPdS2_EvbbiT0_llT1_lllT2_li,"axG",@progbits,_ZL20rocblas_tpmvc_kernelILi512EPKdPdS2_EvbbiT0_llT1_lllT2_li,comdat
	.globl	_ZL20rocblas_tpmvc_kernelILi512EPKdPdS2_EvbbiT0_llT1_lllT2_li ; -- Begin function _ZL20rocblas_tpmvc_kernelILi512EPKdPdS2_EvbbiT0_llT1_lllT2_li
	.p2align	8
	.type	_ZL20rocblas_tpmvc_kernelILi512EPKdPdS2_EvbbiT0_llT1_lllT2_li,@function
_ZL20rocblas_tpmvc_kernelILi512EPKdPdS2_EvbbiT0_llT1_lllT2_li: ; @_ZL20rocblas_tpmvc_kernelILi512EPKdPdS2_EvbbiT0_llT1_lllT2_li
; %bb.0:
	s_clause 0x1
	s_load_b32 s4, s[0:1], 0x64
	s_load_b64 s[2:3], s[0:1], 0x0
	s_waitcnt lgkmcnt(0)
	s_and_b32 s4, s4, 0xffff
	s_delay_alu instid0(SALU_CYCLE_1) | instskip(SKIP_1) | instid1(VALU_DEP_1)
	v_mad_u64_u32 v[1:2], null, s14, s4, v[0:1]
	s_mov_b32 s4, exec_lo
	v_cmpx_gt_i32_e64 s3, v1
	s_cbranch_execz .LBB5_18
; %bb.1:
	s_clause 0x1
	s_load_b32 s4, s[0:1], 0x0
	s_load_b512 s[16:31], s[0:1], 0x8
	v_ashrrev_i32_e32 v2, 31, v1
	s_waitcnt lgkmcnt(0)
	s_and_b32 s33, s4, 1
	s_mul_i32 s5, s15, s21
	s_mul_hi_u32 s6, s15, s20
	v_mul_lo_u32 v0, v1, s27
	v_mul_lo_u32 v5, v2, s26
	s_bitcmp1_b32 s2, 8
	v_mad_u64_u32 v[3:4], null, v1, s26, 0
	s_mul_i32 s4, s15, s20
	s_cselect_b32 s2, -1, 0
	s_add_i32 s5, s6, s5
	s_xor_b32 s20, s2, -1
	s_lshl_b64 s[6:7], s[4:5], 3
	s_mul_i32 s11, s15, s29
	s_add_u32 s2, s16, s6
	s_addc_u32 s4, s17, s7
	s_lshl_b64 s[8:9], s[18:19], 3
	s_mul_hi_u32 s12, s15, s28
	v_add3_u32 v4, v4, v0, v5
	s_add_u32 s14, s2, s8
	s_mul_i32 s10, s15, s28
	s_addc_u32 s18, s4, s9
	s_add_i32 s11, s12, s11
	v_lshlrev_b64 v[3:4], 3, v[3:4]
	s_lshl_b64 s[10:11], s[10:11], 3
	v_cndmask_b32_e64 v0, 0, 1, s20
	s_add_u32 s2, s22, s10
	s_addc_u32 s5, s23, s11
	s_lshl_b64 s[12:13], s[24:25], 3
	s_delay_alu instid0(SALU_CYCLE_1)
	s_add_u32 s4, s2, s12
	s_addc_u32 s5, s5, s13
	v_add_co_u32 v3, vcc_lo, s4, v3
	v_add_co_ci_u32_e32 v4, vcc_lo, s5, v4, vcc_lo
	v_cmp_ne_u32_e32 vcc_lo, 1, v0
	s_cmp_eq_u32 s33, 0
	s_mov_b32 s2, -1
	global_load_b64 v[3:4], v[3:4], off
	s_cbranch_scc0 .LBB5_9
; %bb.2:
	s_waitcnt vmcnt(0)
	v_dual_mov_b32 v6, v4 :: v_dual_mov_b32 v5, v3
	s_and_b32 vcc_lo, exec_lo, vcc_lo
	s_cbranch_vccnz .LBB5_4
; %bb.3:
	v_add_co_u32 v0, vcc_lo, v1, -1
	v_add_co_ci_u32_e32 v5, vcc_lo, -1, v2, vcc_lo
	s_delay_alu instid0(VALU_DEP_2) | instskip(NEXT) | instid1(VALU_DEP_2)
	v_mul_lo_u32 v8, v0, v2
	v_mul_lo_u32 v7, v5, v1
	v_mad_u64_u32 v[5:6], null, v0, v1, 0
	s_delay_alu instid0(VALU_DEP_1) | instskip(SKIP_1) | instid1(VALU_DEP_2)
	v_add3_u32 v6, v6, v8, v7
	v_mad_i64_i32 v[7:8], null, v1, s3, 0
	v_lshrrev_b64 v[5:6], 1, v[5:6]
	s_delay_alu instid0(VALU_DEP_1) | instskip(NEXT) | instid1(VALU_DEP_2)
	v_sub_co_u32 v5, vcc_lo, v7, v5
	v_sub_co_ci_u32_e32 v6, vcc_lo, v8, v6, vcc_lo
	s_delay_alu instid0(VALU_DEP_1) | instskip(NEXT) | instid1(VALU_DEP_1)
	v_lshlrev_b64 v[5:6], 3, v[5:6]
	v_add_co_u32 v5, vcc_lo, s14, v5
	s_delay_alu instid0(VALU_DEP_2)
	v_add_co_ci_u32_e32 v6, vcc_lo, s18, v6, vcc_lo
	global_load_b64 v[5:6], v[5:6], off
	s_waitcnt vmcnt(0)
	v_mul_f64 v[5:6], v[3:4], v[5:6]
.LBB5_4:
	v_add_nc_u32_e32 v7, 1, v1
	s_mov_b32 s19, exec_lo
	s_delay_alu instid0(VALU_DEP_1)
	v_cmpx_gt_i32_e64 s3, v7
	s_cbranch_execz .LBB5_8
; %bb.5:
	v_add_co_u32 v0, vcc_lo, v1, -1
	v_add_co_ci_u32_e32 v8, vcc_lo, -1, v2, vcc_lo
	s_ashr_i32 s25, s3, 31
	s_add_u32 s2, s22, s12
	s_mov_b32 s24, s3
	s_addc_u32 s12, s23, s13
	v_mul_lo_u32 v11, v8, v1
	v_mul_lo_u32 v12, v0, v2
	v_mad_u64_u32 v[9:10], null, v0, v1, 0
	s_add_u32 s2, s2, s10
	s_addc_u32 s21, s12, s11
	s_lshl_b64 s[12:13], s[24:25], 3
	s_lshl_b64 s[10:11], s[26:27], 3
	v_ashrrev_i32_e32 v8, 31, v7
	s_add_u32 s12, s12, -8
	s_addc_u32 s13, s13, -1
	s_add_u32 s6, s8, s6
	s_addc_u32 s7, s9, s7
	v_mul_lo_u32 v0, s27, v7
	v_mul_lo_u32 v17, s26, v8
	v_add3_u32 v10, v10, v12, v11
	v_mad_u64_u32 v[11:12], null, s26, v7, 0
	v_mad_u64_u32 v[13:14], null, s12, v1, s[6:7]
	v_mul_lo_u32 v18, s12, v2
	v_mul_lo_u32 v19, s13, v1
	v_lshlrev_b64 v[9:10], 2, v[9:10]
	v_lshlrev_b64 v[15:16], 3, v[7:8]
	v_add3_u32 v12, v12, v17, v0
	s_mov_b32 s6, 0
	s_delay_alu instid0(VALU_DEP_4) | instskip(NEXT) | instid1(VALU_DEP_4)
	v_add3_u32 v0, v19, v14, v18
	v_and_b32_e32 v14, -8, v9
	s_delay_alu instid0(VALU_DEP_4) | instskip(SKIP_1) | instid1(VALU_DEP_4)
	v_add_co_u32 v13, vcc_lo, v13, v15
	v_lshlrev_b64 v[8:9], 3, v[11:12]
	v_add_co_ci_u32_e32 v0, vcc_lo, v0, v16, vcc_lo
	s_delay_alu instid0(VALU_DEP_3) | instskip(NEXT) | instid1(VALU_DEP_2)
	v_sub_co_u32 v11, vcc_lo, v13, v14
	v_sub_co_ci_u32_e32 v0, vcc_lo, v0, v10, vcc_lo
	s_delay_alu instid0(VALU_DEP_4) | instskip(SKIP_1) | instid1(VALU_DEP_4)
	v_add_co_u32 v8, vcc_lo, s2, v8
	v_add_co_ci_u32_e32 v9, vcc_lo, s21, v9, vcc_lo
	v_add_co_u32 v10, vcc_lo, s16, v11
	s_delay_alu instid0(VALU_DEP_4)
	v_add_co_ci_u32_e32 v11, vcc_lo, s17, v0, vcc_lo
	.p2align	6
.LBB5_6:                                ; =>This Inner Loop Header: Depth=1
	global_load_b64 v[12:13], v[10:11], off
	global_load_b64 v[14:15], v[8:9], off
	v_add_nc_u32_e32 v7, 1, v7
	v_add_co_u32 v8, vcc_lo, v8, s10
	v_add_co_ci_u32_e32 v9, vcc_lo, s11, v9, vcc_lo
	s_delay_alu instid0(VALU_DEP_3) | instskip(SKIP_1) | instid1(VALU_DEP_1)
	v_cmp_le_i32_e32 vcc_lo, s3, v7
	v_add_co_u32 v10, s2, v10, 8
	v_add_co_ci_u32_e64 v11, s2, 0, v11, s2
	s_or_b32 s6, vcc_lo, s6
	s_waitcnt vmcnt(0)
	v_fma_f64 v[5:6], v[12:13], v[14:15], v[5:6]
	s_and_not1_b32 exec_lo, exec_lo, s6
	s_cbranch_execnz .LBB5_6
; %bb.7:
	s_or_b32 exec_lo, exec_lo, s6
.LBB5_8:
	s_delay_alu instid0(SALU_CYCLE_1)
	s_or_b32 exec_lo, exec_lo, s19
	s_branch .LBB5_17
.LBB5_9:
                                        ; implicit-def: $vgpr5_vgpr6
	s_and_b32 vcc_lo, exec_lo, s2
	s_cbranch_vccz .LBB5_17
; %bb.10:
	v_add_nc_u32_e32 v0, 1, v1
	s_and_not1_b32 vcc_lo, exec_lo, s20
	s_cbranch_vccnz .LBB5_12
; %bb.11:
	s_delay_alu instid0(VALU_DEP_1) | instskip(SKIP_1) | instid1(VALU_DEP_2)
	v_mad_i64_i32 v[5:6], null, v0, v1, 0
	v_lshlrev_b64 v[7:8], 3, v[1:2]
	v_lshlrev_b64 v[5:6], 2, v[5:6]
	s_delay_alu instid0(VALU_DEP_1) | instskip(NEXT) | instid1(VALU_DEP_1)
	v_and_b32_e32 v5, -8, v5
	v_add_co_u32 v5, vcc_lo, s14, v5
	s_delay_alu instid0(VALU_DEP_3) | instskip(NEXT) | instid1(VALU_DEP_2)
	v_add_co_ci_u32_e32 v6, vcc_lo, s18, v6, vcc_lo
	v_add_co_u32 v5, vcc_lo, v5, v7
	s_delay_alu instid0(VALU_DEP_2)
	v_add_co_ci_u32_e32 v6, vcc_lo, v6, v8, vcc_lo
	global_load_b64 v[5:6], v[5:6], off
	s_waitcnt vmcnt(0)
	v_mul_f64 v[3:4], v[3:4], v[5:6]
.LBB5_12:
	s_mov_b32 s8, 0
	s_mov_b32 s3, exec_lo
	v_cmpx_lt_i32_e32 0, v1
	s_cbranch_execz .LBB5_16
; %bb.13:
	v_mad_u64_u32 v[5:6], null, v0, v1, 0
	s_lshl_b64 s[6:7], s[26:27], 3
	s_delay_alu instid0(VALU_DEP_1) | instskip(NEXT) | instid1(VALU_DEP_1)
	v_mad_u64_u32 v[7:8], null, v0, v2, v[6:7]
	v_mov_b32_e32 v6, v7
	s_delay_alu instid0(VALU_DEP_1) | instskip(NEXT) | instid1(VALU_DEP_1)
	v_lshlrev_b64 v[5:6], 2, v[5:6]
	v_and_b32_e32 v0, -8, v5
	s_delay_alu instid0(VALU_DEP_1) | instskip(NEXT) | instid1(VALU_DEP_3)
	v_add_co_u32 v5, vcc_lo, s14, v0
	v_add_co_ci_u32_e32 v6, vcc_lo, s18, v6, vcc_lo
	v_mov_b32_e32 v0, v1
	.p2align	6
.LBB5_14:                               ; =>This Inner Loop Header: Depth=1
	global_load_b64 v[7:8], v[5:6], off
	s_load_b64 s[10:11], s[4:5], 0x0
	v_add_nc_u32_e32 v0, -1, v0
	v_add_co_u32 v5, vcc_lo, v5, 8
	v_add_co_ci_u32_e32 v6, vcc_lo, 0, v6, vcc_lo
	s_delay_alu instid0(VALU_DEP_3) | instskip(SKIP_2) | instid1(VALU_DEP_1)
	v_cmp_eq_u32_e64 s2, 0, v0
	s_add_u32 s4, s4, s6
	s_addc_u32 s5, s5, s7
	s_or_b32 s8, s2, s8
	s_waitcnt vmcnt(0) lgkmcnt(0)
	v_fma_f64 v[3:4], v[7:8], s[10:11], v[3:4]
	s_and_not1_b32 exec_lo, exec_lo, s8
	s_cbranch_execnz .LBB5_14
; %bb.15:
	s_or_b32 exec_lo, exec_lo, s8
.LBB5_16:
	s_delay_alu instid0(SALU_CYCLE_1) | instskip(SKIP_1) | instid1(VALU_DEP_1)
	s_or_b32 exec_lo, exec_lo, s3
	s_waitcnt vmcnt(0)
	v_dual_mov_b32 v6, v4 :: v_dual_mov_b32 v5, v3
.LBB5_17:
	s_load_b64 s[0:1], s[0:1], 0x48
	v_lshlrev_b64 v[0:1], 3, v[1:2]
	s_waitcnt lgkmcnt(0)
	s_mul_i32 s1, s15, s1
	s_mul_hi_u32 s2, s15, s0
	s_mul_i32 s0, s15, s0
	s_add_i32 s1, s2, s1
	s_delay_alu instid0(SALU_CYCLE_1) | instskip(NEXT) | instid1(SALU_CYCLE_1)
	s_lshl_b64 s[0:1], s[0:1], 3
	s_add_u32 s0, s30, s0
	s_addc_u32 s1, s31, s1
	v_add_co_u32 v0, vcc_lo, s0, v0
	v_add_co_ci_u32_e32 v1, vcc_lo, s1, v1, vcc_lo
	global_store_b64 v[0:1], v[5:6], off
.LBB5_18:
	s_nop 0
	s_sendmsg sendmsg(MSG_DEALLOC_VGPRS)
	s_endpgm
	.section	.rodata,"a",@progbits
	.p2align	6, 0x0
	.amdhsa_kernel _ZL20rocblas_tpmvc_kernelILi512EPKdPdS2_EvbbiT0_llT1_lllT2_li
		.amdhsa_group_segment_fixed_size 0
		.amdhsa_private_segment_fixed_size 0
		.amdhsa_kernarg_size 344
		.amdhsa_user_sgpr_count 14
		.amdhsa_user_sgpr_dispatch_ptr 0
		.amdhsa_user_sgpr_queue_ptr 0
		.amdhsa_user_sgpr_kernarg_segment_ptr 1
		.amdhsa_user_sgpr_dispatch_id 0
		.amdhsa_user_sgpr_private_segment_size 0
		.amdhsa_wavefront_size32 1
		.amdhsa_uses_dynamic_stack 0
		.amdhsa_enable_private_segment 0
		.amdhsa_system_sgpr_workgroup_id_x 1
		.amdhsa_system_sgpr_workgroup_id_y 0
		.amdhsa_system_sgpr_workgroup_id_z 1
		.amdhsa_system_sgpr_workgroup_info 0
		.amdhsa_system_vgpr_workitem_id 0
		.amdhsa_next_free_vgpr 20
		.amdhsa_next_free_sgpr 34
		.amdhsa_reserve_vcc 1
		.amdhsa_float_round_mode_32 0
		.amdhsa_float_round_mode_16_64 0
		.amdhsa_float_denorm_mode_32 3
		.amdhsa_float_denorm_mode_16_64 3
		.amdhsa_dx10_clamp 1
		.amdhsa_ieee_mode 1
		.amdhsa_fp16_overflow 0
		.amdhsa_workgroup_processor_mode 1
		.amdhsa_memory_ordered 1
		.amdhsa_forward_progress 0
		.amdhsa_shared_vgpr_count 0
		.amdhsa_exception_fp_ieee_invalid_op 0
		.amdhsa_exception_fp_denorm_src 0
		.amdhsa_exception_fp_ieee_div_zero 0
		.amdhsa_exception_fp_ieee_overflow 0
		.amdhsa_exception_fp_ieee_underflow 0
		.amdhsa_exception_fp_ieee_inexact 0
		.amdhsa_exception_int_div_zero 0
	.end_amdhsa_kernel
	.section	.text._ZL20rocblas_tpmvc_kernelILi512EPKdPdS2_EvbbiT0_llT1_lllT2_li,"axG",@progbits,_ZL20rocblas_tpmvc_kernelILi512EPKdPdS2_EvbbiT0_llT1_lllT2_li,comdat
.Lfunc_end5:
	.size	_ZL20rocblas_tpmvc_kernelILi512EPKdPdS2_EvbbiT0_llT1_lllT2_li, .Lfunc_end5-_ZL20rocblas_tpmvc_kernelILi512EPKdPdS2_EvbbiT0_llT1_lllT2_li
                                        ; -- End function
	.section	.AMDGPU.csdata,"",@progbits
; Kernel info:
; codeLenInByte = 1176
; NumSgprs: 36
; NumVgprs: 20
; ScratchSize: 0
; MemoryBound: 0
; FloatMode: 240
; IeeeMode: 1
; LDSByteSize: 0 bytes/workgroup (compile time only)
; SGPRBlocks: 4
; VGPRBlocks: 2
; NumSGPRsForWavesPerEU: 36
; NumVGPRsForWavesPerEU: 20
; Occupancy: 16
; WaveLimiterHint : 0
; COMPUTE_PGM_RSRC2:SCRATCH_EN: 0
; COMPUTE_PGM_RSRC2:USER_SGPR: 14
; COMPUTE_PGM_RSRC2:TRAP_HANDLER: 0
; COMPUTE_PGM_RSRC2:TGID_X_EN: 1
; COMPUTE_PGM_RSRC2:TGID_Y_EN: 0
; COMPUTE_PGM_RSRC2:TGID_Z_EN: 1
; COMPUTE_PGM_RSRC2:TIDIG_COMP_CNT: 0
	.section	.text._ZL20rocblas_tpmvn_kernelILi512EPK19rocblas_complex_numIfEPS1_S4_EvbbiT0_llT1_lllT2_li,"axG",@progbits,_ZL20rocblas_tpmvn_kernelILi512EPK19rocblas_complex_numIfEPS1_S4_EvbbiT0_llT1_lllT2_li,comdat
	.globl	_ZL20rocblas_tpmvn_kernelILi512EPK19rocblas_complex_numIfEPS1_S4_EvbbiT0_llT1_lllT2_li ; -- Begin function _ZL20rocblas_tpmvn_kernelILi512EPK19rocblas_complex_numIfEPS1_S4_EvbbiT0_llT1_lllT2_li
	.p2align	8
	.type	_ZL20rocblas_tpmvn_kernelILi512EPK19rocblas_complex_numIfEPS1_S4_EvbbiT0_llT1_lllT2_li,@function
_ZL20rocblas_tpmvn_kernelILi512EPK19rocblas_complex_numIfEPS1_S4_EvbbiT0_llT1_lllT2_li: ; @_ZL20rocblas_tpmvn_kernelILi512EPK19rocblas_complex_numIfEPS1_S4_EvbbiT0_llT1_lllT2_li
; %bb.0:
	s_clause 0x1
	s_load_b32 s4, s[0:1], 0x64
	s_load_b64 s[2:3], s[0:1], 0x0
	s_waitcnt lgkmcnt(0)
	s_and_b32 s4, s4, 0xffff
	s_delay_alu instid0(SALU_CYCLE_1) | instskip(SKIP_1) | instid1(VALU_DEP_1)
	v_mad_u64_u32 v[1:2], null, s14, s4, v[0:1]
	s_mov_b32 s4, exec_lo
	v_cmpx_gt_i32_e64 s3, v1
	s_cbranch_execz .LBB6_18
; %bb.1:
	s_clause 0x1
	s_load_b32 s4, s[0:1], 0x0
	s_load_b512 s[16:31], s[0:1], 0x8
	v_ashrrev_i32_e32 v2, 31, v1
	s_waitcnt lgkmcnt(0)
	s_and_b32 s12, s4, 1
	s_mul_i32 s5, s15, s21
	s_mul_hi_u32 s6, s15, s20
	v_mul_lo_u32 v0, v1, s27
	v_mul_lo_u32 v5, v2, s26
	s_bitcmp1_b32 s2, 8
	v_mad_u64_u32 v[3:4], null, v1, s26, 0
	s_mul_i32 s4, s15, s20
	s_cselect_b32 s2, -1, 0
	s_add_i32 s5, s6, s5
	s_xor_b32 s20, s2, -1
	s_lshl_b64 s[8:9], s[4:5], 3
	s_mul_i32 s7, s15, s29
	s_add_u32 s2, s16, s8
	s_addc_u32 s4, s17, s9
	s_lshl_b64 s[10:11], s[18:19], 3
	s_mul_hi_u32 s13, s15, s28
	v_add3_u32 v4, v4, v0, v5
	s_add_u32 s2, s2, s10
	s_mul_i32 s6, s15, s28
	s_addc_u32 s14, s4, s11
	s_add_i32 s7, s13, s7
	v_lshlrev_b64 v[3:4], 3, v[3:4]
	s_lshl_b64 s[4:5], s[6:7], 3
	v_cndmask_b32_e64 v0, 0, 1, s20
	s_add_u32 s13, s22, s4
	s_addc_u32 s18, s23, s5
	s_lshl_b64 s[6:7], s[24:25], 3
	s_delay_alu instid0(SALU_CYCLE_1)
	s_add_u32 s13, s13, s6
	s_addc_u32 s18, s18, s7
	v_add_co_u32 v3, vcc_lo, s13, v3
	v_add_co_ci_u32_e32 v4, vcc_lo, s18, v4, vcc_lo
	v_cmp_ne_u32_e32 vcc_lo, 1, v0
	s_cmp_eq_u32 s12, 0
	s_mov_b32 s18, -1
	global_load_b64 v[3:4], v[3:4], off
	s_cbranch_scc0 .LBB6_9
; %bb.2:
	s_waitcnt vmcnt(0)
	v_dual_mov_b32 v5, v3 :: v_dual_mov_b32 v6, v4
	s_and_b32 vcc_lo, exec_lo, vcc_lo
	s_cbranch_vccnz .LBB6_4
; %bb.3:
	v_add_co_u32 v0, vcc_lo, v1, -1
	v_add_co_ci_u32_e32 v5, vcc_lo, -1, v2, vcc_lo
	s_delay_alu instid0(VALU_DEP_2) | instskip(NEXT) | instid1(VALU_DEP_2)
	v_mul_lo_u32 v8, v0, v2
	v_mul_lo_u32 v7, v5, v1
	v_mad_u64_u32 v[5:6], null, v0, v1, 0
	s_delay_alu instid0(VALU_DEP_1) | instskip(SKIP_1) | instid1(VALU_DEP_2)
	v_add3_u32 v6, v6, v8, v7
	v_mad_i64_i32 v[7:8], null, v1, s3, 0
	v_lshrrev_b64 v[5:6], 1, v[5:6]
	s_delay_alu instid0(VALU_DEP_1) | instskip(NEXT) | instid1(VALU_DEP_2)
	v_sub_co_u32 v5, vcc_lo, v7, v5
	v_sub_co_ci_u32_e32 v6, vcc_lo, v8, v6, vcc_lo
	s_delay_alu instid0(VALU_DEP_1) | instskip(NEXT) | instid1(VALU_DEP_1)
	v_lshlrev_b64 v[5:6], 3, v[5:6]
	v_add_co_u32 v5, vcc_lo, s2, v5
	s_delay_alu instid0(VALU_DEP_2) | instskip(SKIP_4) | instid1(VALU_DEP_2)
	v_add_co_ci_u32_e32 v6, vcc_lo, s14, v6, vcc_lo
	global_load_b64 v[7:8], v[5:6], off
	s_waitcnt vmcnt(0)
	v_mul_f32_e32 v0, v4, v8
	v_mul_f32_e32 v6, v3, v8
	v_fma_f32 v5, v3, v7, -v0
	s_delay_alu instid0(VALU_DEP_2)
	v_fmac_f32_e32 v6, v4, v7
.LBB6_4:
	s_mov_b32 s18, 0
	s_mov_b32 s19, exec_lo
	v_cmpx_lt_i32_e32 0, v1
	s_cbranch_execz .LBB6_8
; %bb.5:
	s_ashr_i32 s13, s3, 31
	s_add_u32 s8, s8, s10
	s_mov_b32 s12, s3
	v_lshlrev_b64 v[7:8], 3, v[1:2]
	s_addc_u32 s9, s9, s11
	s_add_u32 s10, s16, s8
	s_addc_u32 s11, s17, s9
	s_lshl_b64 s[8:9], s[12:13], 3
	s_mov_b32 s29, 0
	s_add_u32 s21, s8, -8
	s_addc_u32 s24, s9, -1
	v_add_co_u32 v0, vcc_lo, s10, v7
	s_add_u32 s8, s4, s6
	s_addc_u32 s9, s5, s7
	v_add_co_ci_u32_e32 v7, vcc_lo, s11, v8, vcc_lo
	s_add_u32 s8, s8, s22
	s_addc_u32 s9, s9, s23
	s_add_u32 s25, s8, 4
	s_addc_u32 s28, s9, 0
	s_lshl_b64 s[8:9], s[26:27], 3
	s_mov_b64 s[10:11], 0
	s_mov_b64 s[16:17], 0
	;; [unrolled: 1-line block ×3, first 2 shown]
	s_set_inst_prefetch_distance 0x1
	.p2align	6
.LBB6_6:                                ; =>This Inner Loop Header: Depth=1
	s_lshl_b64 s[34:35], s[10:11], 2
	s_delay_alu instid0(SALU_CYCLE_1)
	s_and_b32 s33, s34, -8
	s_add_u32 s34, s25, -4
	v_sub_co_u32 v8, vcc_lo, v0, s33
	v_subrev_co_ci_u32_e32 v9, vcc_lo, s35, v7, vcc_lo
	s_addc_u32 s35, s28, -1
	v_add_co_u32 v0, vcc_lo, v0, s21
	global_load_b64 v[8:9], v[8:9], off
	s_load_b64 s[34:35], s[34:35], 0x0
	s_add_u32 s12, s12, 1
	s_addc_u32 s13, s13, 0
	v_add_co_ci_u32_e32 v7, vcc_lo, s24, v7, vcc_lo
	s_add_u32 s36, s16, 2
	v_cmp_eq_u32_e32 vcc_lo, s12, v1
	s_addc_u32 s37, s17, 0
	s_add_u32 s10, s10, s16
	s_addc_u32 s11, s11, s17
	s_add_u32 s25, s25, s8
	s_addc_u32 s28, s28, s9
	s_or_b32 s29, vcc_lo, s29
	s_mov_b64 s[16:17], s[36:37]
	s_waitcnt vmcnt(0) lgkmcnt(0)
	v_mul_f32_e32 v10, s35, v9
	v_mul_f32_e32 v9, s34, v9
	s_delay_alu instid0(VALU_DEP_1) | instskip(NEXT) | instid1(VALU_DEP_3)
	v_fmac_f32_e32 v9, s35, v8
	v_fma_f32 v10, s34, v8, -v10
	s_delay_alu instid0(VALU_DEP_1)
	v_dual_add_f32 v6, v6, v9 :: v_dual_add_f32 v5, v5, v10
	s_and_not1_b32 exec_lo, exec_lo, s29
	s_cbranch_execnz .LBB6_6
; %bb.7:
	s_set_inst_prefetch_distance 0x2
	s_or_b32 exec_lo, exec_lo, s29
.LBB6_8:
	s_delay_alu instid0(SALU_CYCLE_1) | instskip(NEXT) | instid1(SALU_CYCLE_1)
	s_or_b32 exec_lo, exec_lo, s19
	s_and_b32 vcc_lo, exec_lo, s18
	s_cbranch_vccnz .LBB6_10
	s_branch .LBB6_17
.LBB6_9:
                                        ; implicit-def: $vgpr6
	s_and_b32 vcc_lo, exec_lo, s18
	s_cbranch_vccz .LBB6_17
.LBB6_10:
	v_add_nc_u32_e32 v5, 1, v1
	s_and_not1_b32 vcc_lo, exec_lo, s20
	s_cbranch_vccnz .LBB6_12
; %bb.11:
	s_delay_alu instid0(VALU_DEP_1) | instskip(SKIP_1) | instid1(VALU_DEP_2)
	v_mad_i64_i32 v[6:7], null, v5, v1, 0
	v_lshlrev_b64 v[8:9], 3, v[1:2]
	v_lshlrev_b64 v[6:7], 2, v[6:7]
	s_delay_alu instid0(VALU_DEP_1) | instskip(NEXT) | instid1(VALU_DEP_1)
	v_and_b32_e32 v0, -8, v6
	v_add_co_u32 v0, vcc_lo, s2, v0
	s_delay_alu instid0(VALU_DEP_3) | instskip(NEXT) | instid1(VALU_DEP_2)
	v_add_co_ci_u32_e32 v7, vcc_lo, s14, v7, vcc_lo
	v_add_co_u32 v6, vcc_lo, v0, v8
	s_delay_alu instid0(VALU_DEP_2) | instskip(SKIP_4) | instid1(VALU_DEP_2)
	v_add_co_ci_u32_e32 v7, vcc_lo, v7, v9, vcc_lo
	global_load_b64 v[6:7], v[6:7], off
	s_waitcnt vmcnt(0)
	v_mul_f32_e32 v0, v4, v7
	v_mul_f32_e32 v7, v3, v7
	v_fma_f32 v3, v3, v6, -v0
	s_delay_alu instid0(VALU_DEP_2) | instskip(NEXT) | instid1(VALU_DEP_1)
	v_fmac_f32_e32 v7, v4, v6
	v_mov_b32_e32 v4, v7
.LBB6_12:
	s_mov_b32 s8, exec_lo
	s_delay_alu instid0(VALU_DEP_1)
	v_cmpx_gt_i32_e64 s3, v5
	s_cbranch_execz .LBB6_16
; %bb.13:
	v_ashrrev_i32_e32 v6, 31, v5
	v_mul_lo_u32 v0, s27, v5
	v_mad_u64_u32 v[7:8], null, s26, v5, 0
	s_add_u32 s6, s22, s6
	s_delay_alu instid0(VALU_DEP_3) | instskip(SKIP_4) | instid1(VALU_DEP_2)
	v_mul_lo_u32 v9, s26, v6
	v_lshlrev_b64 v[10:11], 3, v[1:2]
	s_addc_u32 s7, s23, s7
	s_add_u32 s4, s6, s4
	s_addc_u32 s5, s7, s5
	v_add3_u32 v8, v8, v9, v0
	v_add_nc_u32_e32 v0, 2, v1
	s_delay_alu instid0(VALU_DEP_2) | instskip(NEXT) | instid1(VALU_DEP_2)
	v_lshlrev_b64 v[7:8], 3, v[7:8]
	v_ashrrev_i32_e32 v9, 31, v0
	s_delay_alu instid0(VALU_DEP_2) | instskip(NEXT) | instid1(VALU_DEP_3)
	v_add_co_u32 v7, vcc_lo, s4, v7
	v_add_co_ci_u32_e32 v8, vcc_lo, s5, v8, vcc_lo
	v_add_co_u32 v10, vcc_lo, s2, v10
	v_add_co_ci_u32_e32 v11, vcc_lo, s14, v11, vcc_lo
	s_delay_alu instid0(VALU_DEP_4) | instskip(NEXT) | instid1(VALU_DEP_4)
	v_add_co_u32 v7, vcc_lo, v7, 4
	v_add_co_ci_u32_e32 v8, vcc_lo, 0, v8, vcc_lo
	s_lshl_b64 s[4:5], s[26:27], 3
	s_mov_b32 s2, 0
	s_set_inst_prefetch_distance 0x1
	.p2align	6
.LBB6_14:                               ; =>This Inner Loop Header: Depth=1
	v_mul_lo_u32 v14, v9, v5
	v_mul_lo_u32 v15, v0, v6
	v_mad_u64_u32 v[12:13], null, v0, v5, 0
	s_delay_alu instid0(VALU_DEP_1) | instskip(NEXT) | instid1(VALU_DEP_1)
	v_add3_u32 v13, v13, v15, v14
	v_lshlrev_b64 v[12:13], 2, v[12:13]
	s_delay_alu instid0(VALU_DEP_1) | instskip(NEXT) | instid1(VALU_DEP_1)
	v_and_b32_e32 v12, -8, v12
	v_add_co_u32 v12, vcc_lo, v10, v12
	s_delay_alu instid0(VALU_DEP_3)
	v_add_co_ci_u32_e32 v13, vcc_lo, v11, v13, vcc_lo
	global_load_b64 v[14:15], v[7:8], off offset:-4
	global_load_b64 v[12:13], v[12:13], off
	v_add_co_u32 v5, vcc_lo, v5, 1
	v_add_co_ci_u32_e32 v6, vcc_lo, 0, v6, vcc_lo
	v_add_co_u32 v0, vcc_lo, v0, 1
	v_add_co_ci_u32_e32 v9, vcc_lo, 0, v9, vcc_lo
	;; [unrolled: 2-line block ×3, first 2 shown]
	v_cmp_le_i32_e32 vcc_lo, s3, v5
	s_or_b32 s2, vcc_lo, s2
	s_waitcnt vmcnt(0)
	v_mul_f32_e32 v16, v15, v13
	v_mul_f32_e32 v13, v14, v13
	s_delay_alu instid0(VALU_DEP_2) | instskip(NEXT) | instid1(VALU_DEP_2)
	v_fma_f32 v14, v14, v12, -v16
	v_fmac_f32_e32 v13, v15, v12
	s_delay_alu instid0(VALU_DEP_1)
	v_dual_add_f32 v3, v3, v14 :: v_dual_add_f32 v4, v4, v13
	s_and_not1_b32 exec_lo, exec_lo, s2
	s_cbranch_execnz .LBB6_14
; %bb.15:
	s_set_inst_prefetch_distance 0x2
	s_or_b32 exec_lo, exec_lo, s2
.LBB6_16:
	s_delay_alu instid0(SALU_CYCLE_1)
	s_or_b32 exec_lo, exec_lo, s8
	s_waitcnt vmcnt(0)
	v_dual_mov_b32 v6, v4 :: v_dual_mov_b32 v5, v3
.LBB6_17:
	s_load_b64 s[0:1], s[0:1], 0x48
	v_lshlrev_b64 v[0:1], 3, v[1:2]
	s_waitcnt lgkmcnt(0)
	s_mul_i32 s1, s15, s1
	s_mul_hi_u32 s2, s15, s0
	s_mul_i32 s0, s15, s0
	s_add_i32 s1, s2, s1
	s_delay_alu instid0(SALU_CYCLE_1) | instskip(NEXT) | instid1(SALU_CYCLE_1)
	s_lshl_b64 s[0:1], s[0:1], 3
	s_add_u32 s0, s30, s0
	s_addc_u32 s1, s31, s1
	v_add_co_u32 v0, vcc_lo, s0, v0
	v_add_co_ci_u32_e32 v1, vcc_lo, s1, v1, vcc_lo
	global_store_b64 v[0:1], v[5:6], off
.LBB6_18:
	s_nop 0
	s_sendmsg sendmsg(MSG_DEALLOC_VGPRS)
	s_endpgm
	.section	.rodata,"a",@progbits
	.p2align	6, 0x0
	.amdhsa_kernel _ZL20rocblas_tpmvn_kernelILi512EPK19rocblas_complex_numIfEPS1_S4_EvbbiT0_llT1_lllT2_li
		.amdhsa_group_segment_fixed_size 0
		.amdhsa_private_segment_fixed_size 0
		.amdhsa_kernarg_size 344
		.amdhsa_user_sgpr_count 14
		.amdhsa_user_sgpr_dispatch_ptr 0
		.amdhsa_user_sgpr_queue_ptr 0
		.amdhsa_user_sgpr_kernarg_segment_ptr 1
		.amdhsa_user_sgpr_dispatch_id 0
		.amdhsa_user_sgpr_private_segment_size 0
		.amdhsa_wavefront_size32 1
		.amdhsa_uses_dynamic_stack 0
		.amdhsa_enable_private_segment 0
		.amdhsa_system_sgpr_workgroup_id_x 1
		.amdhsa_system_sgpr_workgroup_id_y 0
		.amdhsa_system_sgpr_workgroup_id_z 1
		.amdhsa_system_sgpr_workgroup_info 0
		.amdhsa_system_vgpr_workitem_id 0
		.amdhsa_next_free_vgpr 17
		.amdhsa_next_free_sgpr 38
		.amdhsa_reserve_vcc 1
		.amdhsa_float_round_mode_32 0
		.amdhsa_float_round_mode_16_64 0
		.amdhsa_float_denorm_mode_32 3
		.amdhsa_float_denorm_mode_16_64 3
		.amdhsa_dx10_clamp 1
		.amdhsa_ieee_mode 1
		.amdhsa_fp16_overflow 0
		.amdhsa_workgroup_processor_mode 1
		.amdhsa_memory_ordered 1
		.amdhsa_forward_progress 0
		.amdhsa_shared_vgpr_count 0
		.amdhsa_exception_fp_ieee_invalid_op 0
		.amdhsa_exception_fp_denorm_src 0
		.amdhsa_exception_fp_ieee_div_zero 0
		.amdhsa_exception_fp_ieee_overflow 0
		.amdhsa_exception_fp_ieee_underflow 0
		.amdhsa_exception_fp_ieee_inexact 0
		.amdhsa_exception_int_div_zero 0
	.end_amdhsa_kernel
	.section	.text._ZL20rocblas_tpmvn_kernelILi512EPK19rocblas_complex_numIfEPS1_S4_EvbbiT0_llT1_lllT2_li,"axG",@progbits,_ZL20rocblas_tpmvn_kernelILi512EPK19rocblas_complex_numIfEPS1_S4_EvbbiT0_llT1_lllT2_li,comdat
.Lfunc_end6:
	.size	_ZL20rocblas_tpmvn_kernelILi512EPK19rocblas_complex_numIfEPS1_S4_EvbbiT0_llT1_lllT2_li, .Lfunc_end6-_ZL20rocblas_tpmvn_kernelILi512EPK19rocblas_complex_numIfEPS1_S4_EvbbiT0_llT1_lllT2_li
                                        ; -- End function
	.section	.AMDGPU.csdata,"",@progbits
; Kernel info:
; codeLenInByte = 1316
; NumSgprs: 40
; NumVgprs: 17
; ScratchSize: 0
; MemoryBound: 0
; FloatMode: 240
; IeeeMode: 1
; LDSByteSize: 0 bytes/workgroup (compile time only)
; SGPRBlocks: 4
; VGPRBlocks: 2
; NumSGPRsForWavesPerEU: 40
; NumVGPRsForWavesPerEU: 17
; Occupancy: 16
; WaveLimiterHint : 0
; COMPUTE_PGM_RSRC2:SCRATCH_EN: 0
; COMPUTE_PGM_RSRC2:USER_SGPR: 14
; COMPUTE_PGM_RSRC2:TRAP_HANDLER: 0
; COMPUTE_PGM_RSRC2:TGID_X_EN: 1
; COMPUTE_PGM_RSRC2:TGID_Y_EN: 0
; COMPUTE_PGM_RSRC2:TGID_Z_EN: 1
; COMPUTE_PGM_RSRC2:TIDIG_COMP_CNT: 0
	.section	.text._ZL20rocblas_tpmvt_kernelILi512EPK19rocblas_complex_numIfEPS1_S4_EvbbiT0_llT1_lllT2_li,"axG",@progbits,_ZL20rocblas_tpmvt_kernelILi512EPK19rocblas_complex_numIfEPS1_S4_EvbbiT0_llT1_lllT2_li,comdat
	.globl	_ZL20rocblas_tpmvt_kernelILi512EPK19rocblas_complex_numIfEPS1_S4_EvbbiT0_llT1_lllT2_li ; -- Begin function _ZL20rocblas_tpmvt_kernelILi512EPK19rocblas_complex_numIfEPS1_S4_EvbbiT0_llT1_lllT2_li
	.p2align	8
	.type	_ZL20rocblas_tpmvt_kernelILi512EPK19rocblas_complex_numIfEPS1_S4_EvbbiT0_llT1_lllT2_li,@function
_ZL20rocblas_tpmvt_kernelILi512EPK19rocblas_complex_numIfEPS1_S4_EvbbiT0_llT1_lllT2_li: ; @_ZL20rocblas_tpmvt_kernelILi512EPK19rocblas_complex_numIfEPS1_S4_EvbbiT0_llT1_lllT2_li
; %bb.0:
	s_clause 0x1
	s_load_b32 s4, s[0:1], 0x64
	s_load_b64 s[2:3], s[0:1], 0x0
	s_waitcnt lgkmcnt(0)
	s_and_b32 s4, s4, 0xffff
	s_delay_alu instid0(SALU_CYCLE_1) | instskip(SKIP_1) | instid1(VALU_DEP_1)
	v_mad_u64_u32 v[1:2], null, s14, s4, v[0:1]
	s_mov_b32 s4, exec_lo
	v_cmpx_gt_i32_e64 s3, v1
	s_cbranch_execz .LBB7_18
; %bb.1:
	s_clause 0x1
	s_load_b32 s4, s[0:1], 0x0
	s_load_b512 s[16:31], s[0:1], 0x8
	v_ashrrev_i32_e32 v2, 31, v1
	s_waitcnt lgkmcnt(0)
	s_and_b32 s12, s4, 1
	s_mul_i32 s5, s15, s21
	s_mul_hi_u32 s6, s15, s20
	v_mul_lo_u32 v0, v1, s27
	v_mul_lo_u32 v5, v2, s26
	s_bitcmp1_b32 s2, 8
	v_mad_u64_u32 v[3:4], null, v1, s26, 0
	s_mul_i32 s4, s15, s20
	s_cselect_b32 s2, -1, 0
	s_add_i32 s5, s6, s5
	s_xor_b32 s20, s2, -1
	s_lshl_b64 s[8:9], s[4:5], 3
	s_mul_i32 s7, s15, s29
	s_add_u32 s2, s16, s8
	s_addc_u32 s4, s17, s9
	s_lshl_b64 s[10:11], s[18:19], 3
	s_mul_hi_u32 s13, s15, s28
	v_add3_u32 v4, v4, v0, v5
	s_add_u32 s14, s2, s10
	s_mul_i32 s6, s15, s28
	s_addc_u32 s18, s4, s11
	s_add_i32 s7, s13, s7
	v_lshlrev_b64 v[3:4], 3, v[3:4]
	s_lshl_b64 s[4:5], s[6:7], 3
	v_cndmask_b32_e64 v0, 0, 1, s20
	s_add_u32 s2, s22, s4
	s_addc_u32 s13, s23, s5
	s_lshl_b64 s[6:7], s[24:25], 3
	s_delay_alu instid0(SALU_CYCLE_1)
	s_add_u32 s2, s2, s6
	s_addc_u32 s13, s13, s7
	v_add_co_u32 v3, vcc_lo, s2, v3
	v_add_co_ci_u32_e32 v4, vcc_lo, s13, v4, vcc_lo
	v_cmp_ne_u32_e32 vcc_lo, 1, v0
	s_cmp_eq_u32 s12, 0
	s_mov_b32 s2, -1
	global_load_b64 v[3:4], v[3:4], off
	s_cbranch_scc0 .LBB7_9
; %bb.2:
	s_waitcnt vmcnt(0)
	v_dual_mov_b32 v5, v3 :: v_dual_mov_b32 v6, v4
	s_and_b32 vcc_lo, exec_lo, vcc_lo
	s_cbranch_vccnz .LBB7_4
; %bb.3:
	v_add_co_u32 v0, vcc_lo, v1, -1
	v_add_co_ci_u32_e32 v5, vcc_lo, -1, v2, vcc_lo
	s_delay_alu instid0(VALU_DEP_2) | instskip(NEXT) | instid1(VALU_DEP_2)
	v_mul_lo_u32 v8, v0, v2
	v_mul_lo_u32 v7, v5, v1
	v_mad_u64_u32 v[5:6], null, v0, v1, 0
	s_delay_alu instid0(VALU_DEP_1) | instskip(SKIP_1) | instid1(VALU_DEP_2)
	v_add3_u32 v6, v6, v8, v7
	v_mad_i64_i32 v[7:8], null, v1, s3, 0
	v_lshrrev_b64 v[5:6], 1, v[5:6]
	s_delay_alu instid0(VALU_DEP_1) | instskip(NEXT) | instid1(VALU_DEP_2)
	v_sub_co_u32 v5, vcc_lo, v7, v5
	v_sub_co_ci_u32_e32 v6, vcc_lo, v8, v6, vcc_lo
	s_delay_alu instid0(VALU_DEP_1) | instskip(NEXT) | instid1(VALU_DEP_1)
	v_lshlrev_b64 v[5:6], 3, v[5:6]
	v_add_co_u32 v5, vcc_lo, s14, v5
	s_delay_alu instid0(VALU_DEP_2) | instskip(SKIP_4) | instid1(VALU_DEP_2)
	v_add_co_ci_u32_e32 v6, vcc_lo, s18, v6, vcc_lo
	global_load_b64 v[7:8], v[5:6], off
	s_waitcnt vmcnt(0)
	v_mul_f32_e32 v0, v4, v8
	v_mul_f32_e32 v6, v3, v8
	v_fma_f32 v5, v3, v7, -v0
	s_delay_alu instid0(VALU_DEP_2)
	v_fmac_f32_e32 v6, v4, v7
.LBB7_4:
	v_add_nc_u32_e32 v7, 1, v1
	s_mov_b32 s19, exec_lo
	s_delay_alu instid0(VALU_DEP_1)
	v_cmpx_gt_i32_e64 s3, v7
	s_cbranch_execz .LBB7_8
; %bb.5:
	v_add_co_u32 v0, vcc_lo, v1, -1
	v_add_co_ci_u32_e32 v8, vcc_lo, -1, v2, vcc_lo
	s_ashr_i32 s13, s3, 31
	s_add_u32 s2, s22, s6
	s_mov_b32 s12, s3
	s_delay_alu instid0(VALU_DEP_1)
	v_mul_lo_u32 v15, v8, v1
	v_ashrrev_i32_e32 v8, 31, v7
	s_addc_u32 s21, s23, s7
	s_add_u32 s2, s2, s4
	v_mul_lo_u32 v16, v0, v2
	v_mad_u64_u32 v[9:10], null, v0, v1, 0
	s_addc_u32 s21, s21, s5
	s_lshl_b64 s[24:25], s[12:13], 3
	s_lshl_b64 s[12:13], s[26:27], 3
	v_mul_lo_u32 v0, s27, v7
	v_mul_lo_u32 v17, s26, v8
	v_mad_u64_u32 v[11:12], null, s26, v7, 0
	s_add_u32 s24, s24, -8
	s_addc_u32 s25, s25, -1
	s_add_u32 s8, s10, s8
	s_addc_u32 s9, s11, s9
	v_mul_lo_u32 v18, s24, v2
	v_mad_u64_u32 v[13:14], null, s24, v1, s[8:9]
	v_mul_lo_u32 v19, s25, v1
	v_add3_u32 v10, v10, v16, v15
	v_add3_u32 v12, v12, v17, v0
	v_lshlrev_b64 v[15:16], 3, v[7:8]
	s_mov_b32 s8, 0
	s_delay_alu instid0(VALU_DEP_3) | instskip(NEXT) | instid1(VALU_DEP_3)
	v_lshlrev_b64 v[8:9], 2, v[9:10]
	v_lshlrev_b64 v[10:11], 3, v[11:12]
	v_add3_u32 v0, v19, v14, v18
	s_delay_alu instid0(VALU_DEP_4) | instskip(NEXT) | instid1(VALU_DEP_4)
	v_add_co_u32 v12, vcc_lo, v13, v15
	v_and_b32_e32 v8, -8, v8
	s_delay_alu instid0(VALU_DEP_3) | instskip(SKIP_2) | instid1(VALU_DEP_4)
	v_add_co_ci_u32_e32 v0, vcc_lo, v0, v16, vcc_lo
	v_add_co_u32 v10, vcc_lo, s2, v10
	v_add_co_ci_u32_e32 v11, vcc_lo, s21, v11, vcc_lo
	v_sub_co_u32 v12, vcc_lo, v12, v8
	s_delay_alu instid0(VALU_DEP_4) | instskip(NEXT) | instid1(VALU_DEP_4)
	v_sub_co_ci_u32_e32 v0, vcc_lo, v0, v9, vcc_lo
	v_add_co_u32 v8, vcc_lo, v10, 4
	s_delay_alu instid0(VALU_DEP_4) | instskip(NEXT) | instid1(VALU_DEP_4)
	v_add_co_ci_u32_e32 v9, vcc_lo, 0, v11, vcc_lo
	v_add_co_u32 v10, vcc_lo, s16, v12
	s_delay_alu instid0(VALU_DEP_4)
	v_add_co_ci_u32_e32 v11, vcc_lo, s17, v0, vcc_lo
	.p2align	6
.LBB7_6:                                ; =>This Inner Loop Header: Depth=1
	global_load_b64 v[12:13], v[10:11], off
	global_load_b64 v[14:15], v[8:9], off offset:-4
	v_add_nc_u32_e32 v7, 1, v7
	v_add_co_u32 v8, vcc_lo, v8, s12
	v_add_co_ci_u32_e32 v9, vcc_lo, s13, v9, vcc_lo
	v_add_co_u32 v10, vcc_lo, v10, 8
	v_add_co_ci_u32_e32 v11, vcc_lo, 0, v11, vcc_lo
	s_waitcnt vmcnt(0)
	v_mul_f32_e32 v0, v15, v13
	v_mul_f32_e32 v13, v14, v13
	v_cmp_le_i32_e64 s2, s3, v7
	s_delay_alu instid0(VALU_DEP_3) | instskip(NEXT) | instid1(VALU_DEP_3)
	v_fma_f32 v0, v14, v12, -v0
	v_fmac_f32_e32 v13, v15, v12
	s_delay_alu instid0(VALU_DEP_3) | instskip(NEXT) | instid1(VALU_DEP_1)
	s_or_b32 s8, s2, s8
	v_dual_add_f32 v5, v5, v0 :: v_dual_add_f32 v6, v6, v13
	s_and_not1_b32 exec_lo, exec_lo, s8
	s_cbranch_execnz .LBB7_6
; %bb.7:
	s_or_b32 exec_lo, exec_lo, s8
.LBB7_8:
	s_delay_alu instid0(SALU_CYCLE_1)
	s_or_b32 exec_lo, exec_lo, s19
	s_branch .LBB7_17
.LBB7_9:
                                        ; implicit-def: $vgpr6
	s_and_b32 vcc_lo, exec_lo, s2
	s_cbranch_vccz .LBB7_17
; %bb.10:
	v_add_nc_u32_e32 v0, 1, v1
	s_and_not1_b32 vcc_lo, exec_lo, s20
	s_cbranch_vccnz .LBB7_12
; %bb.11:
	s_delay_alu instid0(VALU_DEP_1) | instskip(SKIP_1) | instid1(VALU_DEP_2)
	v_mad_i64_i32 v[5:6], null, v0, v1, 0
	v_lshlrev_b64 v[7:8], 3, v[1:2]
	v_lshlrev_b64 v[5:6], 2, v[5:6]
	s_delay_alu instid0(VALU_DEP_1) | instskip(NEXT) | instid1(VALU_DEP_1)
	v_and_b32_e32 v5, -8, v5
	v_add_co_u32 v5, vcc_lo, s14, v5
	s_delay_alu instid0(VALU_DEP_3) | instskip(NEXT) | instid1(VALU_DEP_2)
	v_add_co_ci_u32_e32 v6, vcc_lo, s18, v6, vcc_lo
	v_add_co_u32 v5, vcc_lo, v5, v7
	s_delay_alu instid0(VALU_DEP_2) | instskip(SKIP_4) | instid1(VALU_DEP_1)
	v_add_co_ci_u32_e32 v6, vcc_lo, v6, v8, vcc_lo
	global_load_b64 v[5:6], v[5:6], off
	s_waitcnt vmcnt(0)
	v_mul_f32_e32 v7, v4, v6
	v_mul_f32_e32 v6, v3, v6
	v_fmac_f32_e32 v6, v4, v5
	s_delay_alu instid0(VALU_DEP_1) | instskip(NEXT) | instid1(VALU_DEP_4)
	v_mov_b32_e32 v4, v6
	v_fma_f32 v3, v3, v5, -v7
.LBB7_12:
	s_mov_b32 s9, 0
	s_mov_b32 s8, exec_lo
	v_cmpx_lt_i32_e32 0, v1
	s_cbranch_execz .LBB7_16
; %bb.13:
	v_mad_u64_u32 v[5:6], null, v0, v1, 0
	s_add_u32 s2, s4, s6
	s_addc_u32 s3, s5, s7
	s_add_u32 s2, s2, s22
	s_addc_u32 s3, s3, s23
	;; [unrolled: 2-line block ×3, first 2 shown]
	s_delay_alu instid0(VALU_DEP_1) | instskip(SKIP_1) | instid1(VALU_DEP_1)
	v_mad_u64_u32 v[7:8], null, v0, v2, v[6:7]
	s_lshl_b64 s[2:3], s[26:27], 3
	v_mov_b32_e32 v6, v7
	s_delay_alu instid0(VALU_DEP_1) | instskip(NEXT) | instid1(VALU_DEP_1)
	v_lshlrev_b64 v[5:6], 2, v[5:6]
	v_and_b32_e32 v0, -8, v5
	s_delay_alu instid0(VALU_DEP_1) | instskip(NEXT) | instid1(VALU_DEP_3)
	v_add_co_u32 v5, vcc_lo, s14, v0
	v_add_co_ci_u32_e32 v6, vcc_lo, s18, v6, vcc_lo
	v_mov_b32_e32 v0, v1
	.p2align	6
.LBB7_14:                               ; =>This Inner Loop Header: Depth=1
	global_load_b64 v[7:8], v[5:6], off
	s_add_u32 s6, s4, -4
	s_addc_u32 s7, s5, -1
	v_add_co_u32 v5, vcc_lo, v5, 8
	s_load_b64 s[6:7], s[6:7], 0x0
	v_add_co_ci_u32_e32 v6, vcc_lo, 0, v6, vcc_lo
	s_add_u32 s4, s4, s2
	s_addc_u32 s5, s5, s3
	s_waitcnt vmcnt(0) lgkmcnt(0)
	v_mul_f32_e32 v9, s7, v8
	v_mul_f32_e32 v8, s6, v8
	s_delay_alu instid0(VALU_DEP_1) | instskip(NEXT) | instid1(VALU_DEP_3)
	v_fmac_f32_e32 v8, s7, v7
	v_fma_f32 v9, s6, v7, -v9
	v_add_nc_u32_e32 v0, -1, v0
	s_delay_alu instid0(VALU_DEP_2) | instskip(NEXT) | instid1(VALU_DEP_2)
	v_dual_add_f32 v4, v4, v8 :: v_dual_add_f32 v3, v3, v9
	v_cmp_eq_u32_e32 vcc_lo, 0, v0
	s_or_b32 s9, vcc_lo, s9
	s_delay_alu instid0(SALU_CYCLE_1)
	s_and_not1_b32 exec_lo, exec_lo, s9
	s_cbranch_execnz .LBB7_14
; %bb.15:
	s_or_b32 exec_lo, exec_lo, s9
.LBB7_16:
	s_delay_alu instid0(SALU_CYCLE_1)
	s_or_b32 exec_lo, exec_lo, s8
	s_waitcnt vmcnt(0)
	v_dual_mov_b32 v6, v4 :: v_dual_mov_b32 v5, v3
.LBB7_17:
	s_load_b64 s[0:1], s[0:1], 0x48
	v_lshlrev_b64 v[0:1], 3, v[1:2]
	s_waitcnt lgkmcnt(0)
	s_mul_i32 s1, s15, s1
	s_mul_hi_u32 s2, s15, s0
	s_mul_i32 s0, s15, s0
	s_add_i32 s1, s2, s1
	s_delay_alu instid0(SALU_CYCLE_1) | instskip(NEXT) | instid1(SALU_CYCLE_1)
	s_lshl_b64 s[0:1], s[0:1], 3
	s_add_u32 s0, s30, s0
	s_addc_u32 s1, s31, s1
	v_add_co_u32 v0, vcc_lo, s0, v0
	v_add_co_ci_u32_e32 v1, vcc_lo, s1, v1, vcc_lo
	global_store_b64 v[0:1], v[5:6], off
.LBB7_18:
	s_nop 0
	s_sendmsg sendmsg(MSG_DEALLOC_VGPRS)
	s_endpgm
	.section	.rodata,"a",@progbits
	.p2align	6, 0x0
	.amdhsa_kernel _ZL20rocblas_tpmvt_kernelILi512EPK19rocblas_complex_numIfEPS1_S4_EvbbiT0_llT1_lllT2_li
		.amdhsa_group_segment_fixed_size 0
		.amdhsa_private_segment_fixed_size 0
		.amdhsa_kernarg_size 344
		.amdhsa_user_sgpr_count 14
		.amdhsa_user_sgpr_dispatch_ptr 0
		.amdhsa_user_sgpr_queue_ptr 0
		.amdhsa_user_sgpr_kernarg_segment_ptr 1
		.amdhsa_user_sgpr_dispatch_id 0
		.amdhsa_user_sgpr_private_segment_size 0
		.amdhsa_wavefront_size32 1
		.amdhsa_uses_dynamic_stack 0
		.amdhsa_enable_private_segment 0
		.amdhsa_system_sgpr_workgroup_id_x 1
		.amdhsa_system_sgpr_workgroup_id_y 0
		.amdhsa_system_sgpr_workgroup_id_z 1
		.amdhsa_system_sgpr_workgroup_info 0
		.amdhsa_system_vgpr_workitem_id 0
		.amdhsa_next_free_vgpr 20
		.amdhsa_next_free_sgpr 32
		.amdhsa_reserve_vcc 1
		.amdhsa_float_round_mode_32 0
		.amdhsa_float_round_mode_16_64 0
		.amdhsa_float_denorm_mode_32 3
		.amdhsa_float_denorm_mode_16_64 3
		.amdhsa_dx10_clamp 1
		.amdhsa_ieee_mode 1
		.amdhsa_fp16_overflow 0
		.amdhsa_workgroup_processor_mode 1
		.amdhsa_memory_ordered 1
		.amdhsa_forward_progress 0
		.amdhsa_shared_vgpr_count 0
		.amdhsa_exception_fp_ieee_invalid_op 0
		.amdhsa_exception_fp_denorm_src 0
		.amdhsa_exception_fp_ieee_div_zero 0
		.amdhsa_exception_fp_ieee_overflow 0
		.amdhsa_exception_fp_ieee_underflow 0
		.amdhsa_exception_fp_ieee_inexact 0
		.amdhsa_exception_int_div_zero 0
	.end_amdhsa_kernel
	.section	.text._ZL20rocblas_tpmvt_kernelILi512EPK19rocblas_complex_numIfEPS1_S4_EvbbiT0_llT1_lllT2_li,"axG",@progbits,_ZL20rocblas_tpmvt_kernelILi512EPK19rocblas_complex_numIfEPS1_S4_EvbbiT0_llT1_lllT2_li,comdat
.Lfunc_end7:
	.size	_ZL20rocblas_tpmvt_kernelILi512EPK19rocblas_complex_numIfEPS1_S4_EvbbiT0_llT1_lllT2_li, .Lfunc_end7-_ZL20rocblas_tpmvt_kernelILi512EPK19rocblas_complex_numIfEPS1_S4_EvbbiT0_llT1_lllT2_li
                                        ; -- End function
	.section	.AMDGPU.csdata,"",@progbits
; Kernel info:
; codeLenInByte = 1312
; NumSgprs: 34
; NumVgprs: 20
; ScratchSize: 0
; MemoryBound: 0
; FloatMode: 240
; IeeeMode: 1
; LDSByteSize: 0 bytes/workgroup (compile time only)
; SGPRBlocks: 4
; VGPRBlocks: 2
; NumSGPRsForWavesPerEU: 34
; NumVGPRsForWavesPerEU: 20
; Occupancy: 16
; WaveLimiterHint : 0
; COMPUTE_PGM_RSRC2:SCRATCH_EN: 0
; COMPUTE_PGM_RSRC2:USER_SGPR: 14
; COMPUTE_PGM_RSRC2:TRAP_HANDLER: 0
; COMPUTE_PGM_RSRC2:TGID_X_EN: 1
; COMPUTE_PGM_RSRC2:TGID_Y_EN: 0
; COMPUTE_PGM_RSRC2:TGID_Z_EN: 1
; COMPUTE_PGM_RSRC2:TIDIG_COMP_CNT: 0
	.section	.text._ZL20rocblas_tpmvc_kernelILi512EPK19rocblas_complex_numIfEPS1_S4_EvbbiT0_llT1_lllT2_li,"axG",@progbits,_ZL20rocblas_tpmvc_kernelILi512EPK19rocblas_complex_numIfEPS1_S4_EvbbiT0_llT1_lllT2_li,comdat
	.globl	_ZL20rocblas_tpmvc_kernelILi512EPK19rocblas_complex_numIfEPS1_S4_EvbbiT0_llT1_lllT2_li ; -- Begin function _ZL20rocblas_tpmvc_kernelILi512EPK19rocblas_complex_numIfEPS1_S4_EvbbiT0_llT1_lllT2_li
	.p2align	8
	.type	_ZL20rocblas_tpmvc_kernelILi512EPK19rocblas_complex_numIfEPS1_S4_EvbbiT0_llT1_lllT2_li,@function
_ZL20rocblas_tpmvc_kernelILi512EPK19rocblas_complex_numIfEPS1_S4_EvbbiT0_llT1_lllT2_li: ; @_ZL20rocblas_tpmvc_kernelILi512EPK19rocblas_complex_numIfEPS1_S4_EvbbiT0_llT1_lllT2_li
; %bb.0:
	s_clause 0x1
	s_load_b32 s4, s[0:1], 0x64
	s_load_b64 s[2:3], s[0:1], 0x0
	s_waitcnt lgkmcnt(0)
	s_and_b32 s4, s4, 0xffff
	s_delay_alu instid0(SALU_CYCLE_1) | instskip(SKIP_1) | instid1(VALU_DEP_1)
	v_mad_u64_u32 v[1:2], null, s14, s4, v[0:1]
	s_mov_b32 s4, exec_lo
	v_cmpx_gt_i32_e64 s3, v1
	s_cbranch_execz .LBB8_18
; %bb.1:
	s_clause 0x1
	s_load_b32 s4, s[0:1], 0x0
	s_load_b512 s[16:31], s[0:1], 0x8
	v_ashrrev_i32_e32 v2, 31, v1
	s_waitcnt lgkmcnt(0)
	s_and_b32 s12, s4, 1
	s_mul_i32 s5, s15, s21
	s_mul_hi_u32 s6, s15, s20
	v_mul_lo_u32 v0, v1, s27
	v_mul_lo_u32 v5, v2, s26
	s_bitcmp1_b32 s2, 8
	v_mad_u64_u32 v[3:4], null, v1, s26, 0
	s_mul_i32 s4, s15, s20
	s_cselect_b32 s2, -1, 0
	s_add_i32 s5, s6, s5
	s_xor_b32 s20, s2, -1
	s_lshl_b64 s[4:5], s[4:5], 3
	s_mul_i32 s9, s15, s29
	s_add_u32 s2, s16, s4
	s_addc_u32 s11, s17, s5
	s_lshl_b64 s[6:7], s[18:19], 3
	s_mul_hi_u32 s10, s15, s28
	v_add3_u32 v4, v4, v0, v5
	s_add_u32 s14, s2, s6
	s_mul_i32 s8, s15, s28
	s_addc_u32 s18, s11, s7
	s_add_i32 s9, s10, s9
	v_lshlrev_b64 v[3:4], 3, v[3:4]
	s_lshl_b64 s[8:9], s[8:9], 3
	v_cndmask_b32_e64 v0, 0, 1, s20
	s_add_u32 s2, s22, s8
	s_addc_u32 s13, s23, s9
	s_lshl_b64 s[10:11], s[24:25], 3
	s_delay_alu instid0(SALU_CYCLE_1)
	s_add_u32 s2, s2, s10
	s_addc_u32 s13, s13, s11
	v_add_co_u32 v3, vcc_lo, s2, v3
	v_add_co_ci_u32_e32 v4, vcc_lo, s13, v4, vcc_lo
	v_cmp_ne_u32_e32 vcc_lo, 1, v0
	s_cmp_eq_u32 s12, 0
	s_mov_b32 s2, -1
	global_load_b64 v[3:4], v[3:4], off
	s_cbranch_scc0 .LBB8_9
; %bb.2:
	s_waitcnt vmcnt(0)
	v_dual_mov_b32 v5, v3 :: v_dual_mov_b32 v6, v4
	s_and_b32 vcc_lo, exec_lo, vcc_lo
	s_cbranch_vccnz .LBB8_4
; %bb.3:
	v_add_co_u32 v0, vcc_lo, v1, -1
	v_add_co_ci_u32_e32 v5, vcc_lo, -1, v2, vcc_lo
	s_delay_alu instid0(VALU_DEP_2) | instskip(NEXT) | instid1(VALU_DEP_2)
	v_mul_lo_u32 v8, v0, v2
	v_mul_lo_u32 v7, v5, v1
	v_mad_u64_u32 v[5:6], null, v0, v1, 0
	s_delay_alu instid0(VALU_DEP_1) | instskip(SKIP_1) | instid1(VALU_DEP_2)
	v_add3_u32 v6, v6, v8, v7
	v_mad_i64_i32 v[7:8], null, v1, s3, 0
	v_lshrrev_b64 v[5:6], 1, v[5:6]
	s_delay_alu instid0(VALU_DEP_1) | instskip(NEXT) | instid1(VALU_DEP_2)
	v_sub_co_u32 v5, vcc_lo, v7, v5
	v_sub_co_ci_u32_e32 v6, vcc_lo, v8, v6, vcc_lo
	s_delay_alu instid0(VALU_DEP_1) | instskip(NEXT) | instid1(VALU_DEP_1)
	v_lshlrev_b64 v[5:6], 3, v[5:6]
	v_add_co_u32 v5, vcc_lo, s14, v5
	s_delay_alu instid0(VALU_DEP_2) | instskip(SKIP_4) | instid1(VALU_DEP_2)
	v_add_co_ci_u32_e32 v6, vcc_lo, s18, v6, vcc_lo
	global_load_b64 v[6:7], v[5:6], off
	s_waitcnt vmcnt(0)
	v_mul_f32_e32 v5, v4, v7
	v_mul_f32_e32 v0, v3, v7
	v_fmac_f32_e32 v5, v3, v6
	s_delay_alu instid0(VALU_DEP_2)
	v_fma_f32 v6, v4, v6, -v0
.LBB8_4:
	v_add_nc_u32_e32 v7, 1, v1
	s_mov_b32 s19, exec_lo
	s_delay_alu instid0(VALU_DEP_1)
	v_cmpx_gt_i32_e64 s3, v7
	s_cbranch_execz .LBB8_8
; %bb.5:
	v_add_co_u32 v0, vcc_lo, v1, -1
	v_add_co_ci_u32_e32 v8, vcc_lo, -1, v2, vcc_lo
	s_ashr_i32 s13, s3, 31
	s_delay_alu instid0(VALU_DEP_2) | instskip(SKIP_1) | instid1(VALU_DEP_3)
	v_mul_lo_u32 v11, v0, v2
	v_mad_u64_u32 v[9:10], null, v0, v1, 0
	v_mul_lo_u32 v8, v8, v1
	s_mov_b32 s12, s3
	s_delay_alu instid0(SALU_CYCLE_1) | instskip(NEXT) | instid1(SALU_CYCLE_1)
	s_lshl_b64 s[12:13], s[12:13], 3
	s_add_u32 s2, s12, -8
	s_addc_u32 s21, s13, -1
	s_add_u32 s12, s6, s4
	s_delay_alu instid0(VALU_DEP_1)
	v_add3_u32 v10, v10, v11, v8
	s_addc_u32 s13, s7, s5
	v_mul_lo_u32 v0, s2, v2
	v_mad_u64_u32 v[11:12], null, s2, v1, s[12:13]
	v_mul_lo_u32 v15, s21, v1
	v_lshlrev_b64 v[9:10], 2, v[9:10]
	v_ashrrev_i32_e32 v8, 31, v7
	s_add_u32 s2, s22, s10
	s_addc_u32 s12, s23, s11
	s_add_u32 s2, s2, s8
	s_addc_u32 s12, s12, s9
	v_lshlrev_b64 v[13:14], 3, v[7:8]
	v_add3_u32 v0, v15, v12, v0
	v_and_b32_e32 v12, -8, v9
	v_mul_lo_u32 v15, s27, v7
	v_mul_lo_u32 v16, s26, v8
	v_mad_u64_u32 v[8:9], null, s26, v7, 0
	v_add_co_u32 v11, vcc_lo, v11, v13
	v_add_co_ci_u32_e32 v0, vcc_lo, v0, v14, vcc_lo
	s_mov_b32 s21, 0
	s_delay_alu instid0(VALU_DEP_2) | instskip(NEXT) | instid1(VALU_DEP_4)
	v_sub_co_u32 v11, vcc_lo, v11, v12
	v_add3_u32 v9, v9, v16, v15
	s_delay_alu instid0(VALU_DEP_3) | instskip(NEXT) | instid1(VALU_DEP_3)
	v_sub_co_ci_u32_e32 v0, vcc_lo, v0, v10, vcc_lo
	v_add_co_u32 v10, vcc_lo, v11, s16
	s_delay_alu instid0(VALU_DEP_3) | instskip(NEXT) | instid1(VALU_DEP_3)
	v_lshlrev_b64 v[8:9], 3, v[8:9]
	v_add_co_ci_u32_e32 v0, vcc_lo, s17, v0, vcc_lo
	s_delay_alu instid0(VALU_DEP_2) | instskip(NEXT) | instid1(VALU_DEP_3)
	v_add_co_u32 v11, vcc_lo, s2, v8
	v_add_co_ci_u32_e32 v12, vcc_lo, s12, v9, vcc_lo
	v_add_co_u32 v8, vcc_lo, v10, 4
	s_delay_alu instid0(VALU_DEP_4) | instskip(NEXT) | instid1(VALU_DEP_4)
	v_add_co_ci_u32_e32 v9, vcc_lo, 0, v0, vcc_lo
	v_add_co_u32 v10, vcc_lo, v11, 4
	s_delay_alu instid0(VALU_DEP_4)
	v_add_co_ci_u32_e32 v11, vcc_lo, 0, v12, vcc_lo
	s_lshl_b64 s[12:13], s[26:27], 3
	.p2align	6
.LBB8_6:                                ; =>This Inner Loop Header: Depth=1
	global_load_b64 v[12:13], v[8:9], off offset:-4
	global_load_b64 v[14:15], v[10:11], off offset:-4
	v_add_co_u32 v8, vcc_lo, v8, 8
	v_add_co_ci_u32_e32 v9, vcc_lo, 0, v9, vcc_lo
	v_add_co_u32 v10, vcc_lo, v10, s12
	v_add_co_ci_u32_e32 v11, vcc_lo, s13, v11, vcc_lo
	s_waitcnt vmcnt(0)
	v_mul_f32_e32 v0, v13, v15
	v_mul_f32_e32 v13, v13, v14
	s_delay_alu instid0(VALU_DEP_2) | instskip(NEXT) | instid1(VALU_DEP_2)
	v_dual_fmac_f32 v0, v12, v14 :: v_dual_add_nc_u32 v7, 1, v7
	v_fma_f32 v12, v12, v15, -v13
	s_delay_alu instid0(VALU_DEP_2) | instskip(NEXT) | instid1(VALU_DEP_3)
	v_cmp_le_i32_e64 s2, s3, v7
	v_add_f32_e32 v5, v5, v0
	s_delay_alu instid0(VALU_DEP_3) | instskip(NEXT) | instid1(VALU_DEP_3)
	v_add_f32_e32 v6, v6, v12
	s_or_b32 s21, s2, s21
	s_delay_alu instid0(SALU_CYCLE_1)
	s_and_not1_b32 exec_lo, exec_lo, s21
	s_cbranch_execnz .LBB8_6
; %bb.7:
	s_or_b32 exec_lo, exec_lo, s21
.LBB8_8:
	s_delay_alu instid0(SALU_CYCLE_1)
	s_or_b32 exec_lo, exec_lo, s19
	s_branch .LBB8_17
.LBB8_9:
                                        ; implicit-def: $vgpr6
	s_and_b32 vcc_lo, exec_lo, s2
	s_cbranch_vccz .LBB8_17
; %bb.10:
	v_add_nc_u32_e32 v0, 1, v1
	s_and_not1_b32 vcc_lo, exec_lo, s20
	s_cbranch_vccnz .LBB8_12
; %bb.11:
	s_delay_alu instid0(VALU_DEP_1) | instskip(SKIP_1) | instid1(VALU_DEP_2)
	v_mad_i64_i32 v[5:6], null, v0, v1, 0
	v_lshlrev_b64 v[7:8], 3, v[1:2]
	v_lshlrev_b64 v[5:6], 2, v[5:6]
	s_delay_alu instid0(VALU_DEP_1) | instskip(NEXT) | instid1(VALU_DEP_1)
	v_and_b32_e32 v5, -8, v5
	v_add_co_u32 v5, vcc_lo, s14, v5
	s_delay_alu instid0(VALU_DEP_3) | instskip(NEXT) | instid1(VALU_DEP_2)
	v_add_co_ci_u32_e32 v6, vcc_lo, s18, v6, vcc_lo
	v_add_co_u32 v5, vcc_lo, v5, v7
	s_delay_alu instid0(VALU_DEP_2) | instskip(SKIP_4) | instid1(VALU_DEP_2)
	v_add_co_ci_u32_e32 v6, vcc_lo, v6, v8, vcc_lo
	global_load_b64 v[5:6], v[5:6], off
	s_waitcnt vmcnt(0)
	v_mul_f32_e32 v7, v4, v6
	v_mul_f32_e32 v6, v3, v6
	v_fmac_f32_e32 v7, v3, v5
	s_delay_alu instid0(VALU_DEP_2) | instskip(NEXT) | instid1(VALU_DEP_2)
	v_fma_f32 v4, v4, v5, -v6
	v_mov_b32_e32 v3, v7
.LBB8_12:
	s_mov_b32 s13, 0
	s_mov_b32 s12, exec_lo
	v_cmpx_lt_i32_e32 0, v1
	s_cbranch_execz .LBB8_16
; %bb.13:
	v_mad_u64_u32 v[5:6], null, v0, v1, 0
	s_add_u32 s2, s8, s10
	s_addc_u32 s3, s9, s11
	s_add_u32 s2, s2, s22
	s_addc_u32 s3, s3, s23
	;; [unrolled: 2-line block ×3, first 2 shown]
	s_delay_alu instid0(VALU_DEP_1)
	v_mad_u64_u32 v[7:8], null, v0, v2, v[6:7]
	s_lshl_b64 s[2:3], s[26:27], 3
	s_add_u32 s4, s4, s6
	s_addc_u32 s5, s5, s7
	s_add_u32 s4, s16, s4
	s_addc_u32 s5, s17, s5
	s_delay_alu instid0(VALU_DEP_1) | instskip(NEXT) | instid1(VALU_DEP_1)
	v_mov_b32_e32 v6, v7
	v_lshlrev_b64 v[5:6], 2, v[5:6]
	s_delay_alu instid0(VALU_DEP_1) | instskip(NEXT) | instid1(VALU_DEP_1)
	v_and_b32_e32 v0, -8, v5
	v_add_co_u32 v0, vcc_lo, s4, v0
	s_delay_alu instid0(VALU_DEP_3) | instskip(NEXT) | instid1(VALU_DEP_2)
	v_add_co_ci_u32_e32 v6, vcc_lo, s5, v6, vcc_lo
	v_add_co_u32 v5, vcc_lo, v0, 4
	s_delay_alu instid0(VALU_DEP_2)
	v_add_co_ci_u32_e32 v6, vcc_lo, 0, v6, vcc_lo
	v_mov_b32_e32 v0, v1
	.p2align	6
.LBB8_14:                               ; =>This Inner Loop Header: Depth=1
	global_load_b64 v[7:8], v[5:6], off offset:-4
	s_add_u32 s4, s8, -4
	s_addc_u32 s5, s9, -1
	v_add_co_u32 v5, vcc_lo, v5, 8
	s_load_b64 s[4:5], s[4:5], 0x0
	v_add_co_ci_u32_e32 v6, vcc_lo, 0, v6, vcc_lo
	s_add_u32 s8, s8, s2
	s_addc_u32 s9, s9, s3
	s_waitcnt vmcnt(0) lgkmcnt(0)
	v_mul_f32_e32 v9, s5, v8
	s_delay_alu instid0(VALU_DEP_1) | instskip(SKIP_1) | instid1(VALU_DEP_2)
	v_dual_fmac_f32 v9, s4, v7 :: v_dual_add_nc_u32 v0, -1, v0
	v_mul_f32_e32 v8, s4, v8
	v_cmp_eq_u32_e32 vcc_lo, 0, v0
	s_delay_alu instid0(VALU_DEP_3) | instskip(NEXT) | instid1(VALU_DEP_3)
	v_add_f32_e32 v3, v3, v9
	v_fma_f32 v7, v7, s5, -v8
	s_or_b32 s13, vcc_lo, s13
	s_delay_alu instid0(VALU_DEP_1)
	v_add_f32_e32 v4, v4, v7
	s_and_not1_b32 exec_lo, exec_lo, s13
	s_cbranch_execnz .LBB8_14
; %bb.15:
	s_or_b32 exec_lo, exec_lo, s13
.LBB8_16:
	s_delay_alu instid0(SALU_CYCLE_1)
	s_or_b32 exec_lo, exec_lo, s12
	s_waitcnt vmcnt(0)
	v_dual_mov_b32 v6, v4 :: v_dual_mov_b32 v5, v3
.LBB8_17:
	s_load_b64 s[0:1], s[0:1], 0x48
	v_lshlrev_b64 v[0:1], 3, v[1:2]
	s_waitcnt lgkmcnt(0)
	s_mul_i32 s1, s15, s1
	s_mul_hi_u32 s2, s15, s0
	s_mul_i32 s0, s15, s0
	s_add_i32 s1, s2, s1
	s_delay_alu instid0(SALU_CYCLE_1) | instskip(NEXT) | instid1(SALU_CYCLE_1)
	s_lshl_b64 s[0:1], s[0:1], 3
	s_add_u32 s0, s30, s0
	s_addc_u32 s1, s31, s1
	v_add_co_u32 v0, vcc_lo, s0, v0
	v_add_co_ci_u32_e32 v1, vcc_lo, s1, v1, vcc_lo
	global_store_b64 v[0:1], v[5:6], off
.LBB8_18:
	s_nop 0
	s_sendmsg sendmsg(MSG_DEALLOC_VGPRS)
	s_endpgm
	.section	.rodata,"a",@progbits
	.p2align	6, 0x0
	.amdhsa_kernel _ZL20rocblas_tpmvc_kernelILi512EPK19rocblas_complex_numIfEPS1_S4_EvbbiT0_llT1_lllT2_li
		.amdhsa_group_segment_fixed_size 0
		.amdhsa_private_segment_fixed_size 0
		.amdhsa_kernarg_size 344
		.amdhsa_user_sgpr_count 14
		.amdhsa_user_sgpr_dispatch_ptr 0
		.amdhsa_user_sgpr_queue_ptr 0
		.amdhsa_user_sgpr_kernarg_segment_ptr 1
		.amdhsa_user_sgpr_dispatch_id 0
		.amdhsa_user_sgpr_private_segment_size 0
		.amdhsa_wavefront_size32 1
		.amdhsa_uses_dynamic_stack 0
		.amdhsa_enable_private_segment 0
		.amdhsa_system_sgpr_workgroup_id_x 1
		.amdhsa_system_sgpr_workgroup_id_y 0
		.amdhsa_system_sgpr_workgroup_id_z 1
		.amdhsa_system_sgpr_workgroup_info 0
		.amdhsa_system_vgpr_workitem_id 0
		.amdhsa_next_free_vgpr 17
		.amdhsa_next_free_sgpr 32
		.amdhsa_reserve_vcc 1
		.amdhsa_float_round_mode_32 0
		.amdhsa_float_round_mode_16_64 0
		.amdhsa_float_denorm_mode_32 3
		.amdhsa_float_denorm_mode_16_64 3
		.amdhsa_dx10_clamp 1
		.amdhsa_ieee_mode 1
		.amdhsa_fp16_overflow 0
		.amdhsa_workgroup_processor_mode 1
		.amdhsa_memory_ordered 1
		.amdhsa_forward_progress 0
		.amdhsa_shared_vgpr_count 0
		.amdhsa_exception_fp_ieee_invalid_op 0
		.amdhsa_exception_fp_denorm_src 0
		.amdhsa_exception_fp_ieee_div_zero 0
		.amdhsa_exception_fp_ieee_overflow 0
		.amdhsa_exception_fp_ieee_underflow 0
		.amdhsa_exception_fp_ieee_inexact 0
		.amdhsa_exception_int_div_zero 0
	.end_amdhsa_kernel
	.section	.text._ZL20rocblas_tpmvc_kernelILi512EPK19rocblas_complex_numIfEPS1_S4_EvbbiT0_llT1_lllT2_li,"axG",@progbits,_ZL20rocblas_tpmvc_kernelILi512EPK19rocblas_complex_numIfEPS1_S4_EvbbiT0_llT1_lllT2_li,comdat
.Lfunc_end8:
	.size	_ZL20rocblas_tpmvc_kernelILi512EPK19rocblas_complex_numIfEPS1_S4_EvbbiT0_llT1_lllT2_li, .Lfunc_end8-_ZL20rocblas_tpmvc_kernelILi512EPK19rocblas_complex_numIfEPS1_S4_EvbbiT0_llT1_lllT2_li
                                        ; -- End function
	.section	.AMDGPU.csdata,"",@progbits
; Kernel info:
; codeLenInByte = 1376
; NumSgprs: 34
; NumVgprs: 17
; ScratchSize: 0
; MemoryBound: 0
; FloatMode: 240
; IeeeMode: 1
; LDSByteSize: 0 bytes/workgroup (compile time only)
; SGPRBlocks: 4
; VGPRBlocks: 2
; NumSGPRsForWavesPerEU: 34
; NumVGPRsForWavesPerEU: 17
; Occupancy: 16
; WaveLimiterHint : 0
; COMPUTE_PGM_RSRC2:SCRATCH_EN: 0
; COMPUTE_PGM_RSRC2:USER_SGPR: 14
; COMPUTE_PGM_RSRC2:TRAP_HANDLER: 0
; COMPUTE_PGM_RSRC2:TGID_X_EN: 1
; COMPUTE_PGM_RSRC2:TGID_Y_EN: 0
; COMPUTE_PGM_RSRC2:TGID_Z_EN: 1
; COMPUTE_PGM_RSRC2:TIDIG_COMP_CNT: 0
	.section	.text._ZL20rocblas_tpmvn_kernelILi512EPK19rocblas_complex_numIdEPS1_S4_EvbbiT0_llT1_lllT2_li,"axG",@progbits,_ZL20rocblas_tpmvn_kernelILi512EPK19rocblas_complex_numIdEPS1_S4_EvbbiT0_llT1_lllT2_li,comdat
	.globl	_ZL20rocblas_tpmvn_kernelILi512EPK19rocblas_complex_numIdEPS1_S4_EvbbiT0_llT1_lllT2_li ; -- Begin function _ZL20rocblas_tpmvn_kernelILi512EPK19rocblas_complex_numIdEPS1_S4_EvbbiT0_llT1_lllT2_li
	.p2align	8
	.type	_ZL20rocblas_tpmvn_kernelILi512EPK19rocblas_complex_numIdEPS1_S4_EvbbiT0_llT1_lllT2_li,@function
_ZL20rocblas_tpmvn_kernelILi512EPK19rocblas_complex_numIdEPS1_S4_EvbbiT0_llT1_lllT2_li: ; @_ZL20rocblas_tpmvn_kernelILi512EPK19rocblas_complex_numIdEPS1_S4_EvbbiT0_llT1_lllT2_li
; %bb.0:
	s_clause 0x1
	s_load_b32 s4, s[0:1], 0x64
	s_load_b64 s[2:3], s[0:1], 0x0
	s_waitcnt lgkmcnt(0)
	s_and_b32 s4, s4, 0xffff
	s_delay_alu instid0(SALU_CYCLE_1) | instskip(SKIP_1) | instid1(VALU_DEP_1)
	v_mad_u64_u32 v[8:9], null, s14, s4, v[0:1]
	s_mov_b32 s4, exec_lo
	v_cmpx_gt_i32_e64 s3, v8
	s_cbranch_execz .LBB9_18
; %bb.1:
	s_clause 0x1
	s_load_b32 s4, s[0:1], 0x0
	s_load_b512 s[16:31], s[0:1], 0x8
	v_ashrrev_i32_e32 v9, 31, v8
	s_waitcnt lgkmcnt(0)
	s_and_b32 s12, s4, 1
	s_mul_i32 s5, s15, s21
	s_mul_hi_u32 s6, s15, s20
	v_mul_lo_u32 v2, v8, s27
	v_mul_lo_u32 v3, v9, s26
	s_bitcmp1_b32 s2, 8
	v_mad_u64_u32 v[0:1], null, v8, s26, 0
	s_mul_i32 s4, s15, s20
	s_cselect_b32 s2, -1, 0
	s_add_i32 s5, s6, s5
	s_xor_b32 s20, s2, -1
	s_lshl_b64 s[8:9], s[4:5], 4
	s_mul_i32 s7, s15, s29
	s_add_u32 s2, s16, s8
	s_addc_u32 s4, s17, s9
	s_lshl_b64 s[10:11], s[18:19], 4
	s_mul_hi_u32 s13, s15, s28
	v_add3_u32 v1, v1, v2, v3
	s_add_u32 s2, s2, s10
	s_mul_i32 s6, s15, s28
	s_addc_u32 s14, s4, s11
	s_add_i32 s7, s13, s7
	v_lshlrev_b64 v[0:1], 4, v[0:1]
	s_lshl_b64 s[4:5], s[6:7], 4
	v_cndmask_b32_e64 v4, 0, 1, s20
	s_add_u32 s13, s22, s4
	s_addc_u32 s18, s23, s5
	s_lshl_b64 s[6:7], s[24:25], 4
	s_delay_alu instid0(SALU_CYCLE_1)
	s_add_u32 s13, s13, s6
	s_addc_u32 s18, s18, s7
	v_add_co_u32 v0, vcc_lo, s13, v0
	v_add_co_ci_u32_e32 v1, vcc_lo, s18, v1, vcc_lo
	v_cmp_ne_u32_e32 vcc_lo, 1, v4
	s_cmp_eq_u32 s12, 0
	s_mov_b32 s18, -1
	global_load_b128 v[0:3], v[0:1], off
	s_cbranch_scc0 .LBB9_9
; %bb.2:
	s_waitcnt vmcnt(0)
	v_dual_mov_b32 v5, v1 :: v_dual_mov_b32 v4, v0
	v_dual_mov_b32 v7, v3 :: v_dual_mov_b32 v6, v2
	s_and_b32 vcc_lo, exec_lo, vcc_lo
	s_cbranch_vccnz .LBB9_4
; %bb.3:
	v_add_co_u32 v6, vcc_lo, v8, -1
	v_add_co_ci_u32_e32 v4, vcc_lo, -1, v9, vcc_lo
	s_delay_alu instid0(VALU_DEP_2) | instskip(NEXT) | instid1(VALU_DEP_2)
	v_mul_lo_u32 v10, v6, v9
	v_mul_lo_u32 v7, v4, v8
	v_mad_u64_u32 v[4:5], null, v6, v8, 0
	s_delay_alu instid0(VALU_DEP_1) | instskip(SKIP_1) | instid1(VALU_DEP_2)
	v_add3_u32 v5, v5, v10, v7
	v_mad_i64_i32 v[6:7], null, v8, s3, 0
	v_lshrrev_b64 v[4:5], 1, v[4:5]
	s_delay_alu instid0(VALU_DEP_1) | instskip(NEXT) | instid1(VALU_DEP_2)
	v_sub_co_u32 v4, vcc_lo, v6, v4
	v_sub_co_ci_u32_e32 v5, vcc_lo, v7, v5, vcc_lo
	s_delay_alu instid0(VALU_DEP_1) | instskip(NEXT) | instid1(VALU_DEP_1)
	v_lshlrev_b64 v[4:5], 4, v[4:5]
	v_add_co_u32 v4, vcc_lo, s2, v4
	s_delay_alu instid0(VALU_DEP_2) | instskip(SKIP_4) | instid1(VALU_DEP_2)
	v_add_co_ci_u32_e32 v5, vcc_lo, s14, v5, vcc_lo
	global_load_b128 v[10:13], v[4:5], off
	s_waitcnt vmcnt(0)
	v_mul_f64 v[4:5], v[2:3], v[12:13]
	v_mul_f64 v[6:7], v[0:1], v[12:13]
	v_fma_f64 v[4:5], v[0:1], v[10:11], -v[4:5]
	s_delay_alu instid0(VALU_DEP_2)
	v_fma_f64 v[6:7], v[2:3], v[10:11], v[6:7]
.LBB9_4:
	s_mov_b32 s18, 0
	s_mov_b32 s19, exec_lo
	v_cmpx_lt_i32_e32 0, v8
	s_cbranch_execz .LBB9_8
; %bb.5:
	v_lshlrev_b64 v[10:11], 4, v[8:9]
	s_ashr_i32 s13, s3, 31
	s_add_u32 s8, s8, s10
	s_addc_u32 s9, s9, s11
	s_add_u32 s8, s16, s8
	s_mov_b32 s12, s3
	s_addc_u32 s9, s17, s9
	v_add_co_u32 v10, vcc_lo, s8, v10
	v_add_co_ci_u32_e32 v11, vcc_lo, s9, v11, vcc_lo
	s_lshl_b64 s[8:9], s[12:13], 4
	s_delay_alu instid0(VALU_DEP_2)
	v_add_co_u32 v10, vcc_lo, v10, 8
	s_add_u32 s21, s8, -16
	s_addc_u32 s24, s9, -1
	s_add_u32 s8, s4, s6
	s_addc_u32 s9, s5, s7
	v_add_co_ci_u32_e32 v11, vcc_lo, 0, v11, vcc_lo
	s_add_u32 s8, s8, s22
	s_addc_u32 s9, s9, s23
	s_add_u32 s25, s8, 8
	s_addc_u32 s28, s9, 0
	s_lshl_b64 s[8:9], s[26:27], 4
	s_mov_b64 s[10:11], 0
	s_mov_b32 s29, 0
	s_mov_b64 s[16:17], 0
	s_mov_b64 s[12:13], 0
	s_set_inst_prefetch_distance 0x1
	.p2align	6
.LBB9_6:                                ; =>This Inner Loop Header: Depth=1
	s_lshl_b64 s[34:35], s[10:11], 3
	s_delay_alu instid0(SALU_CYCLE_1)
	s_and_b32 s33, s34, -16
	s_add_u32 s34, s25, -8
	v_sub_co_u32 v12, vcc_lo, v10, s33
	v_subrev_co_ci_u32_e32 v13, vcc_lo, s35, v11, vcc_lo
	s_addc_u32 s35, s28, -1
	v_add_co_u32 v10, vcc_lo, v10, s21
	global_load_b128 v[12:15], v[12:13], off offset:-8
	s_load_b128 s[36:39], s[34:35], 0x0
	s_add_u32 s12, s12, 1
	s_addc_u32 s13, s13, 0
	v_add_co_ci_u32_e32 v11, vcc_lo, s24, v11, vcc_lo
	s_add_u32 s34, s16, 2
	v_cmp_eq_u32_e32 vcc_lo, s12, v8
	s_addc_u32 s35, s17, 0
	s_add_u32 s10, s10, s16
	s_addc_u32 s11, s11, s17
	s_add_u32 s25, s25, s8
	s_addc_u32 s28, s28, s9
	s_or_b32 s29, vcc_lo, s29
	s_mov_b64 s[16:17], s[34:35]
	s_waitcnt vmcnt(0) lgkmcnt(0)
	v_mul_f64 v[16:17], s[38:39], v[14:15]
	v_mul_f64 v[14:15], s[36:37], v[14:15]
	s_delay_alu instid0(VALU_DEP_2) | instskip(NEXT) | instid1(VALU_DEP_2)
	v_fma_f64 v[16:17], s[36:37], v[12:13], -v[16:17]
	v_fma_f64 v[12:13], s[38:39], v[12:13], v[14:15]
	s_delay_alu instid0(VALU_DEP_2) | instskip(NEXT) | instid1(VALU_DEP_2)
	v_add_f64 v[4:5], v[4:5], v[16:17]
	v_add_f64 v[6:7], v[6:7], v[12:13]
	s_and_not1_b32 exec_lo, exec_lo, s29
	s_cbranch_execnz .LBB9_6
; %bb.7:
	s_set_inst_prefetch_distance 0x2
	s_or_b32 exec_lo, exec_lo, s29
.LBB9_8:
	s_delay_alu instid0(SALU_CYCLE_1) | instskip(NEXT) | instid1(SALU_CYCLE_1)
	s_or_b32 exec_lo, exec_lo, s19
	s_and_b32 vcc_lo, exec_lo, s18
	s_cbranch_vccnz .LBB9_10
	s_branch .LBB9_17
.LBB9_9:
                                        ; implicit-def: $vgpr6_vgpr7
	s_and_b32 vcc_lo, exec_lo, s18
	s_cbranch_vccz .LBB9_17
.LBB9_10:
	v_add_nc_u32_e32 v4, 1, v8
	s_and_not1_b32 vcc_lo, exec_lo, s20
	s_cbranch_vccnz .LBB9_12
; %bb.11:
	s_delay_alu instid0(VALU_DEP_1) | instskip(SKIP_1) | instid1(VALU_DEP_2)
	v_mad_i64_i32 v[5:6], null, v4, v8, 0
	v_lshlrev_b64 v[10:11], 4, v[8:9]
	v_lshlrev_b64 v[5:6], 3, v[5:6]
	s_delay_alu instid0(VALU_DEP_1) | instskip(NEXT) | instid1(VALU_DEP_1)
	v_and_b32_e32 v5, -16, v5
	v_add_co_u32 v5, vcc_lo, s2, v5
	s_delay_alu instid0(VALU_DEP_3) | instskip(NEXT) | instid1(VALU_DEP_2)
	v_add_co_ci_u32_e32 v6, vcc_lo, s14, v6, vcc_lo
	v_add_co_u32 v5, vcc_lo, v5, v10
	s_delay_alu instid0(VALU_DEP_2) | instskip(SKIP_4) | instid1(VALU_DEP_2)
	v_add_co_ci_u32_e32 v6, vcc_lo, v6, v11, vcc_lo
	global_load_b128 v[10:13], v[5:6], off
	s_waitcnt vmcnt(0)
	v_mul_f64 v[5:6], v[2:3], v[12:13]
	v_mul_f64 v[12:13], v[0:1], v[12:13]
	v_fma_f64 v[0:1], v[0:1], v[10:11], -v[5:6]
	s_delay_alu instid0(VALU_DEP_2)
	v_fma_f64 v[2:3], v[2:3], v[10:11], v[12:13]
.LBB9_12:
	s_mov_b32 s8, exec_lo
	s_delay_alu instid0(VALU_DEP_1)
	v_cmpx_gt_i32_e64 s3, v4
	s_cbranch_execz .LBB9_16
; %bb.13:
	v_ashrrev_i32_e32 v5, 31, v4
	v_mul_lo_u32 v10, s27, v4
	v_mad_u64_u32 v[6:7], null, s26, v4, 0
	s_add_u32 s6, s22, s6
	s_delay_alu instid0(VALU_DEP_3)
	v_mul_lo_u32 v11, s26, v5
	v_lshlrev_b64 v[12:13], 4, v[8:9]
	s_addc_u32 s7, s23, s7
	s_add_u32 s4, s6, s4
	s_addc_u32 s5, s7, s5
	s_mov_b32 s6, 0
	s_delay_alu instid0(VALU_DEP_2) | instskip(SKIP_1) | instid1(VALU_DEP_2)
	v_add3_u32 v7, v7, v11, v10
	v_add_nc_u32_e32 v10, 2, v8
	v_lshlrev_b64 v[6:7], 4, v[6:7]
	s_delay_alu instid0(VALU_DEP_2) | instskip(NEXT) | instid1(VALU_DEP_2)
	v_ashrrev_i32_e32 v11, 31, v10
	v_add_co_u32 v6, vcc_lo, s4, v6
	s_delay_alu instid0(VALU_DEP_3) | instskip(SKIP_2) | instid1(VALU_DEP_4)
	v_add_co_ci_u32_e32 v7, vcc_lo, s5, v7, vcc_lo
	v_add_co_u32 v12, vcc_lo, s2, v12
	v_add_co_ci_u32_e32 v13, vcc_lo, s14, v13, vcc_lo
	v_add_co_u32 v6, vcc_lo, v6, 8
	s_delay_alu instid0(VALU_DEP_4)
	v_add_co_ci_u32_e32 v7, vcc_lo, 0, v7, vcc_lo
	s_lshl_b64 s[4:5], s[26:27], 4
	s_set_inst_prefetch_distance 0x1
	.p2align	6
.LBB9_14:                               ; =>This Inner Loop Header: Depth=1
	v_mul_lo_u32 v16, v11, v4
	v_mul_lo_u32 v17, v10, v5
	v_mad_u64_u32 v[14:15], null, v10, v4, 0
	s_delay_alu instid0(VALU_DEP_1) | instskip(NEXT) | instid1(VALU_DEP_1)
	v_add3_u32 v15, v15, v17, v16
	v_lshlrev_b64 v[14:15], 3, v[14:15]
	s_delay_alu instid0(VALU_DEP_1) | instskip(NEXT) | instid1(VALU_DEP_1)
	v_and_b32_e32 v14, -16, v14
	v_add_co_u32 v18, vcc_lo, v12, v14
	s_delay_alu instid0(VALU_DEP_3)
	v_add_co_ci_u32_e32 v19, vcc_lo, v13, v15, vcc_lo
	global_load_b128 v[14:17], v[6:7], off offset:-8
	global_load_b128 v[18:21], v[18:19], off
	v_add_co_u32 v4, vcc_lo, v4, 1
	v_add_co_ci_u32_e32 v5, vcc_lo, 0, v5, vcc_lo
	v_add_co_u32 v10, vcc_lo, v10, 1
	v_add_co_ci_u32_e32 v11, vcc_lo, 0, v11, vcc_lo
	v_add_co_u32 v6, vcc_lo, v6, s4
	v_cmp_le_i32_e64 s2, s3, v4
	v_add_co_ci_u32_e32 v7, vcc_lo, s5, v7, vcc_lo
	s_delay_alu instid0(VALU_DEP_2) | instskip(SKIP_3) | instid1(VALU_DEP_2)
	s_or_b32 s6, s2, s6
	s_waitcnt vmcnt(0)
	v_mul_f64 v[22:23], v[16:17], v[20:21]
	v_mul_f64 v[20:21], v[14:15], v[20:21]
	v_fma_f64 v[14:15], v[14:15], v[18:19], -v[22:23]
	s_delay_alu instid0(VALU_DEP_2) | instskip(NEXT) | instid1(VALU_DEP_2)
	v_fma_f64 v[16:17], v[16:17], v[18:19], v[20:21]
	v_add_f64 v[0:1], v[0:1], v[14:15]
	s_delay_alu instid0(VALU_DEP_2)
	v_add_f64 v[2:3], v[2:3], v[16:17]
	s_and_not1_b32 exec_lo, exec_lo, s6
	s_cbranch_execnz .LBB9_14
; %bb.15:
	s_set_inst_prefetch_distance 0x2
	s_or_b32 exec_lo, exec_lo, s6
.LBB9_16:
	s_delay_alu instid0(SALU_CYCLE_1) | instskip(SKIP_1) | instid1(VALU_DEP_1)
	s_or_b32 exec_lo, exec_lo, s8
	s_waitcnt vmcnt(0)
	v_dual_mov_b32 v7, v3 :: v_dual_mov_b32 v6, v2
	s_delay_alu instid0(VALU_DEP_3)
	v_dual_mov_b32 v5, v1 :: v_dual_mov_b32 v4, v0
.LBB9_17:
	s_load_b64 s[0:1], s[0:1], 0x48
	s_waitcnt vmcnt(0)
	v_lshlrev_b64 v[0:1], 4, v[8:9]
	s_waitcnt lgkmcnt(0)
	s_mul_i32 s1, s15, s1
	s_mul_hi_u32 s2, s15, s0
	s_mul_i32 s0, s15, s0
	s_add_i32 s1, s2, s1
	s_delay_alu instid0(SALU_CYCLE_1) | instskip(NEXT) | instid1(SALU_CYCLE_1)
	s_lshl_b64 s[0:1], s[0:1], 4
	s_add_u32 s0, s30, s0
	s_addc_u32 s1, s31, s1
	v_add_co_u32 v0, vcc_lo, s0, v0
	v_add_co_ci_u32_e32 v1, vcc_lo, s1, v1, vcc_lo
	global_store_b128 v[0:1], v[4:7], off
.LBB9_18:
	s_nop 0
	s_sendmsg sendmsg(MSG_DEALLOC_VGPRS)
	s_endpgm
	.section	.rodata,"a",@progbits
	.p2align	6, 0x0
	.amdhsa_kernel _ZL20rocblas_tpmvn_kernelILi512EPK19rocblas_complex_numIdEPS1_S4_EvbbiT0_llT1_lllT2_li
		.amdhsa_group_segment_fixed_size 0
		.amdhsa_private_segment_fixed_size 0
		.amdhsa_kernarg_size 344
		.amdhsa_user_sgpr_count 14
		.amdhsa_user_sgpr_dispatch_ptr 0
		.amdhsa_user_sgpr_queue_ptr 0
		.amdhsa_user_sgpr_kernarg_segment_ptr 1
		.amdhsa_user_sgpr_dispatch_id 0
		.amdhsa_user_sgpr_private_segment_size 0
		.amdhsa_wavefront_size32 1
		.amdhsa_uses_dynamic_stack 0
		.amdhsa_enable_private_segment 0
		.amdhsa_system_sgpr_workgroup_id_x 1
		.amdhsa_system_sgpr_workgroup_id_y 0
		.amdhsa_system_sgpr_workgroup_id_z 1
		.amdhsa_system_sgpr_workgroup_info 0
		.amdhsa_system_vgpr_workitem_id 0
		.amdhsa_next_free_vgpr 24
		.amdhsa_next_free_sgpr 40
		.amdhsa_reserve_vcc 1
		.amdhsa_float_round_mode_32 0
		.amdhsa_float_round_mode_16_64 0
		.amdhsa_float_denorm_mode_32 3
		.amdhsa_float_denorm_mode_16_64 3
		.amdhsa_dx10_clamp 1
		.amdhsa_ieee_mode 1
		.amdhsa_fp16_overflow 0
		.amdhsa_workgroup_processor_mode 1
		.amdhsa_memory_ordered 1
		.amdhsa_forward_progress 0
		.amdhsa_shared_vgpr_count 0
		.amdhsa_exception_fp_ieee_invalid_op 0
		.amdhsa_exception_fp_denorm_src 0
		.amdhsa_exception_fp_ieee_div_zero 0
		.amdhsa_exception_fp_ieee_overflow 0
		.amdhsa_exception_fp_ieee_underflow 0
		.amdhsa_exception_fp_ieee_inexact 0
		.amdhsa_exception_int_div_zero 0
	.end_amdhsa_kernel
	.section	.text._ZL20rocblas_tpmvn_kernelILi512EPK19rocblas_complex_numIdEPS1_S4_EvbbiT0_llT1_lllT2_li,"axG",@progbits,_ZL20rocblas_tpmvn_kernelILi512EPK19rocblas_complex_numIdEPS1_S4_EvbbiT0_llT1_lllT2_li,comdat
.Lfunc_end9:
	.size	_ZL20rocblas_tpmvn_kernelILi512EPK19rocblas_complex_numIdEPS1_S4_EvbbiT0_llT1_lllT2_li, .Lfunc_end9-_ZL20rocblas_tpmvn_kernelILi512EPK19rocblas_complex_numIdEPS1_S4_EvbbiT0_llT1_lllT2_li
                                        ; -- End function
	.section	.AMDGPU.csdata,"",@progbits
; Kernel info:
; codeLenInByte = 1428
; NumSgprs: 42
; NumVgprs: 24
; ScratchSize: 0
; MemoryBound: 0
; FloatMode: 240
; IeeeMode: 1
; LDSByteSize: 0 bytes/workgroup (compile time only)
; SGPRBlocks: 5
; VGPRBlocks: 2
; NumSGPRsForWavesPerEU: 42
; NumVGPRsForWavesPerEU: 24
; Occupancy: 16
; WaveLimiterHint : 0
; COMPUTE_PGM_RSRC2:SCRATCH_EN: 0
; COMPUTE_PGM_RSRC2:USER_SGPR: 14
; COMPUTE_PGM_RSRC2:TRAP_HANDLER: 0
; COMPUTE_PGM_RSRC2:TGID_X_EN: 1
; COMPUTE_PGM_RSRC2:TGID_Y_EN: 0
; COMPUTE_PGM_RSRC2:TGID_Z_EN: 1
; COMPUTE_PGM_RSRC2:TIDIG_COMP_CNT: 0
	.section	.text._ZL20rocblas_tpmvt_kernelILi512EPK19rocblas_complex_numIdEPS1_S4_EvbbiT0_llT1_lllT2_li,"axG",@progbits,_ZL20rocblas_tpmvt_kernelILi512EPK19rocblas_complex_numIdEPS1_S4_EvbbiT0_llT1_lllT2_li,comdat
	.globl	_ZL20rocblas_tpmvt_kernelILi512EPK19rocblas_complex_numIdEPS1_S4_EvbbiT0_llT1_lllT2_li ; -- Begin function _ZL20rocblas_tpmvt_kernelILi512EPK19rocblas_complex_numIdEPS1_S4_EvbbiT0_llT1_lllT2_li
	.p2align	8
	.type	_ZL20rocblas_tpmvt_kernelILi512EPK19rocblas_complex_numIdEPS1_S4_EvbbiT0_llT1_lllT2_li,@function
_ZL20rocblas_tpmvt_kernelILi512EPK19rocblas_complex_numIdEPS1_S4_EvbbiT0_llT1_lllT2_li: ; @_ZL20rocblas_tpmvt_kernelILi512EPK19rocblas_complex_numIdEPS1_S4_EvbbiT0_llT1_lllT2_li
; %bb.0:
	s_clause 0x1
	s_load_b32 s4, s[0:1], 0x64
	s_load_b64 s[2:3], s[0:1], 0x0
	s_waitcnt lgkmcnt(0)
	s_and_b32 s4, s4, 0xffff
	s_delay_alu instid0(SALU_CYCLE_1) | instskip(SKIP_1) | instid1(VALU_DEP_1)
	v_mad_u64_u32 v[8:9], null, s14, s4, v[0:1]
	s_mov_b32 s4, exec_lo
	v_cmpx_gt_i32_e64 s3, v8
	s_cbranch_execz .LBB10_18
; %bb.1:
	s_clause 0x1
	s_load_b32 s4, s[0:1], 0x0
	s_load_b512 s[16:31], s[0:1], 0x8
	v_ashrrev_i32_e32 v9, 31, v8
	s_waitcnt lgkmcnt(0)
	s_and_b32 s12, s4, 1
	s_mul_i32 s5, s15, s21
	s_mul_hi_u32 s6, s15, s20
	v_mul_lo_u32 v2, v8, s27
	v_mul_lo_u32 v3, v9, s26
	s_bitcmp1_b32 s2, 8
	v_mad_u64_u32 v[0:1], null, v8, s26, 0
	s_mul_i32 s4, s15, s20
	s_cselect_b32 s2, -1, 0
	s_add_i32 s5, s6, s5
	s_xor_b32 s20, s2, -1
	s_lshl_b64 s[4:5], s[4:5], 4
	s_mul_i32 s9, s15, s29
	s_add_u32 s2, s16, s4
	s_addc_u32 s11, s17, s5
	s_lshl_b64 s[6:7], s[18:19], 4
	s_mul_hi_u32 s10, s15, s28
	v_add3_u32 v1, v1, v2, v3
	s_add_u32 s14, s2, s6
	s_mul_i32 s8, s15, s28
	s_addc_u32 s18, s11, s7
	s_add_i32 s9, s10, s9
	v_lshlrev_b64 v[0:1], 4, v[0:1]
	s_lshl_b64 s[8:9], s[8:9], 4
	v_cndmask_b32_e64 v4, 0, 1, s20
	s_add_u32 s2, s22, s8
	s_addc_u32 s13, s23, s9
	s_lshl_b64 s[10:11], s[24:25], 4
	s_delay_alu instid0(SALU_CYCLE_1)
	s_add_u32 s2, s2, s10
	s_addc_u32 s13, s13, s11
	v_add_co_u32 v0, vcc_lo, s2, v0
	v_add_co_ci_u32_e32 v1, vcc_lo, s13, v1, vcc_lo
	v_cmp_ne_u32_e32 vcc_lo, 1, v4
	s_cmp_eq_u32 s12, 0
	s_mov_b32 s2, -1
	global_load_b128 v[0:3], v[0:1], off
	s_cbranch_scc0 .LBB10_9
; %bb.2:
	s_waitcnt vmcnt(0)
	v_dual_mov_b32 v5, v1 :: v_dual_mov_b32 v4, v0
	v_dual_mov_b32 v7, v3 :: v_dual_mov_b32 v6, v2
	s_and_b32 vcc_lo, exec_lo, vcc_lo
	s_cbranch_vccnz .LBB10_4
; %bb.3:
	v_add_co_u32 v6, vcc_lo, v8, -1
	v_add_co_ci_u32_e32 v4, vcc_lo, -1, v9, vcc_lo
	s_delay_alu instid0(VALU_DEP_2) | instskip(NEXT) | instid1(VALU_DEP_2)
	v_mul_lo_u32 v10, v6, v9
	v_mul_lo_u32 v7, v4, v8
	v_mad_u64_u32 v[4:5], null, v6, v8, 0
	s_delay_alu instid0(VALU_DEP_1) | instskip(SKIP_1) | instid1(VALU_DEP_2)
	v_add3_u32 v5, v5, v10, v7
	v_mad_i64_i32 v[6:7], null, v8, s3, 0
	v_lshrrev_b64 v[4:5], 1, v[4:5]
	s_delay_alu instid0(VALU_DEP_1) | instskip(NEXT) | instid1(VALU_DEP_2)
	v_sub_co_u32 v4, vcc_lo, v6, v4
	v_sub_co_ci_u32_e32 v5, vcc_lo, v7, v5, vcc_lo
	s_delay_alu instid0(VALU_DEP_1) | instskip(NEXT) | instid1(VALU_DEP_1)
	v_lshlrev_b64 v[4:5], 4, v[4:5]
	v_add_co_u32 v4, vcc_lo, s14, v4
	s_delay_alu instid0(VALU_DEP_2) | instskip(SKIP_4) | instid1(VALU_DEP_2)
	v_add_co_ci_u32_e32 v5, vcc_lo, s18, v5, vcc_lo
	global_load_b128 v[10:13], v[4:5], off
	s_waitcnt vmcnt(0)
	v_mul_f64 v[4:5], v[2:3], v[12:13]
	v_mul_f64 v[6:7], v[0:1], v[12:13]
	v_fma_f64 v[4:5], v[0:1], v[10:11], -v[4:5]
	s_delay_alu instid0(VALU_DEP_2)
	v_fma_f64 v[6:7], v[2:3], v[10:11], v[6:7]
.LBB10_4:
	v_add_nc_u32_e32 v10, 1, v8
	s_mov_b32 s19, exec_lo
	s_delay_alu instid0(VALU_DEP_1)
	v_cmpx_gt_i32_e64 s3, v10
	s_cbranch_execz .LBB10_8
; %bb.5:
	v_add_co_u32 v11, vcc_lo, v8, -1
	v_add_co_ci_u32_e32 v12, vcc_lo, -1, v9, vcc_lo
	s_ashr_i32 s13, s3, 31
	s_delay_alu instid0(VALU_DEP_2) | instskip(SKIP_1) | instid1(VALU_DEP_2)
	v_mul_lo_u32 v15, v11, v9
	s_mov_b32 s12, s3
	v_mul_lo_u32 v14, v12, v8
	v_mad_u64_u32 v[12:13], null, v11, v8, 0
	s_lshl_b64 s[12:13], s[12:13], 4
	v_ashrrev_i32_e32 v11, 31, v10
	s_add_u32 s2, s12, -16
	s_addc_u32 s21, s13, -1
	s_add_u32 s12, s6, s4
	s_addc_u32 s13, s7, s5
	s_delay_alu instid0(VALU_DEP_2) | instskip(SKIP_3) | instid1(VALU_DEP_4)
	v_add3_u32 v13, v13, v15, v14
	v_mad_u64_u32 v[14:15], null, s2, v8, s[12:13]
	v_mul_lo_u32 v18, s2, v9
	v_mul_lo_u32 v19, s21, v8
	v_lshlrev_b64 v[12:13], 3, v[12:13]
	v_lshlrev_b64 v[16:17], 4, v[10:11]
	v_mul_lo_u32 v20, s26, v11
	s_add_u32 s2, s22, s10
	s_addc_u32 s12, s23, s11
	s_add_u32 s2, s2, s8
	s_addc_u32 s12, s12, s9
	v_add3_u32 v15, v19, v15, v18
	v_and_b32_e32 v18, -16, v12
	v_mul_lo_u32 v19, s27, v10
	v_mad_u64_u32 v[11:12], null, s26, v10, 0
	v_add_co_u32 v14, vcc_lo, v14, v16
	v_add_co_ci_u32_e32 v15, vcc_lo, v15, v17, vcc_lo
	s_mov_b32 s21, 0
	s_delay_alu instid0(VALU_DEP_2) | instskip(NEXT) | instid1(VALU_DEP_4)
	v_sub_co_u32 v14, vcc_lo, v14, v18
	v_add3_u32 v12, v12, v20, v19
	s_delay_alu instid0(VALU_DEP_3) | instskip(NEXT) | instid1(VALU_DEP_3)
	v_sub_co_ci_u32_e32 v13, vcc_lo, v15, v13, vcc_lo
	v_add_co_u32 v14, vcc_lo, v14, s16
	s_delay_alu instid0(VALU_DEP_3) | instskip(NEXT) | instid1(VALU_DEP_3)
	v_lshlrev_b64 v[11:12], 4, v[11:12]
	v_add_co_ci_u32_e32 v13, vcc_lo, s17, v13, vcc_lo
	s_delay_alu instid0(VALU_DEP_2) | instskip(NEXT) | instid1(VALU_DEP_3)
	v_add_co_u32 v15, vcc_lo, s2, v11
	v_add_co_ci_u32_e32 v16, vcc_lo, s12, v12, vcc_lo
	v_add_co_u32 v11, vcc_lo, v14, 8
	s_delay_alu instid0(VALU_DEP_4) | instskip(NEXT) | instid1(VALU_DEP_4)
	v_add_co_ci_u32_e32 v12, vcc_lo, 0, v13, vcc_lo
	v_add_co_u32 v13, vcc_lo, v15, 8
	s_delay_alu instid0(VALU_DEP_4)
	v_add_co_ci_u32_e32 v14, vcc_lo, 0, v16, vcc_lo
	s_lshl_b64 s[12:13], s[26:27], 4
	.p2align	6
.LBB10_6:                               ; =>This Inner Loop Header: Depth=1
	global_load_b128 v[15:18], v[13:14], off offset:-8
	global_load_b128 v[19:22], v[11:12], off offset:-8
	v_add_nc_u32_e32 v10, 1, v10
	v_add_co_u32 v11, vcc_lo, v11, 16
	v_add_co_ci_u32_e32 v12, vcc_lo, 0, v12, vcc_lo
	s_delay_alu instid0(VALU_DEP_3) | instskip(SKIP_1) | instid1(VALU_DEP_1)
	v_cmp_le_i32_e32 vcc_lo, s3, v10
	v_add_co_u32 v13, s2, v13, s12
	v_add_co_ci_u32_e64 v14, s2, s13, v14, s2
	s_or_b32 s21, vcc_lo, s21
	s_waitcnt vmcnt(0)
	v_mul_f64 v[23:24], v[17:18], v[21:22]
	v_mul_f64 v[21:22], v[15:16], v[21:22]
	s_delay_alu instid0(VALU_DEP_2) | instskip(NEXT) | instid1(VALU_DEP_2)
	v_fma_f64 v[15:16], v[15:16], v[19:20], -v[23:24]
	v_fma_f64 v[17:18], v[17:18], v[19:20], v[21:22]
	s_delay_alu instid0(VALU_DEP_2) | instskip(NEXT) | instid1(VALU_DEP_2)
	v_add_f64 v[4:5], v[4:5], v[15:16]
	v_add_f64 v[6:7], v[6:7], v[17:18]
	s_and_not1_b32 exec_lo, exec_lo, s21
	s_cbranch_execnz .LBB10_6
; %bb.7:
	s_or_b32 exec_lo, exec_lo, s21
.LBB10_8:
	s_delay_alu instid0(SALU_CYCLE_1)
	s_or_b32 exec_lo, exec_lo, s19
	s_branch .LBB10_17
.LBB10_9:
                                        ; implicit-def: $vgpr6_vgpr7
	s_and_b32 vcc_lo, exec_lo, s2
	s_cbranch_vccz .LBB10_17
; %bb.10:
	v_add_nc_u32_e32 v4, 1, v8
	s_and_not1_b32 vcc_lo, exec_lo, s20
	s_cbranch_vccnz .LBB10_12
; %bb.11:
	s_delay_alu instid0(VALU_DEP_1) | instskip(SKIP_1) | instid1(VALU_DEP_2)
	v_mad_i64_i32 v[5:6], null, v4, v8, 0
	v_lshlrev_b64 v[10:11], 4, v[8:9]
	v_lshlrev_b64 v[5:6], 3, v[5:6]
	s_delay_alu instid0(VALU_DEP_1) | instskip(NEXT) | instid1(VALU_DEP_1)
	v_and_b32_e32 v5, -16, v5
	v_add_co_u32 v5, vcc_lo, s14, v5
	s_delay_alu instid0(VALU_DEP_3) | instskip(NEXT) | instid1(VALU_DEP_2)
	v_add_co_ci_u32_e32 v6, vcc_lo, s18, v6, vcc_lo
	v_add_co_u32 v5, vcc_lo, v5, v10
	s_delay_alu instid0(VALU_DEP_2) | instskip(SKIP_4) | instid1(VALU_DEP_2)
	v_add_co_ci_u32_e32 v6, vcc_lo, v6, v11, vcc_lo
	global_load_b128 v[10:13], v[5:6], off
	s_waitcnt vmcnt(0)
	v_mul_f64 v[5:6], v[2:3], v[12:13]
	v_mul_f64 v[12:13], v[0:1], v[12:13]
	v_fma_f64 v[0:1], v[0:1], v[10:11], -v[5:6]
	s_delay_alu instid0(VALU_DEP_2)
	v_fma_f64 v[2:3], v[2:3], v[10:11], v[12:13]
.LBB10_12:
	s_mov_b32 s12, 0
	s_mov_b32 s3, exec_lo
	v_cmpx_lt_i32_e32 0, v8
	s_cbranch_execz .LBB10_16
; %bb.13:
	v_mad_u64_u32 v[5:6], null, v4, v8, 0
	s_add_u32 s2, s8, s10
	s_addc_u32 s8, s9, s11
	s_add_u32 s2, s2, s22
	s_addc_u32 s8, s8, s23
	;; [unrolled: 2-line block ×3, first 2 shown]
	s_delay_alu instid0(VALU_DEP_1)
	v_mad_u64_u32 v[10:11], null, v4, v9, v[6:7]
	s_lshl_b64 s[8:9], s[26:27], 4
	s_add_u32 s2, s4, s6
	s_addc_u32 s4, s5, s7
	s_add_u32 s2, s16, s2
	s_addc_u32 s4, s17, s4
	s_delay_alu instid0(VALU_DEP_1) | instskip(NEXT) | instid1(VALU_DEP_1)
	v_mov_b32_e32 v6, v10
	v_lshlrev_b64 v[4:5], 3, v[5:6]
	v_mov_b32_e32 v6, v8
	s_delay_alu instid0(VALU_DEP_2) | instskip(NEXT) | instid1(VALU_DEP_1)
	v_and_b32_e32 v4, -16, v4
	v_add_co_u32 v4, vcc_lo, s2, v4
	s_delay_alu instid0(VALU_DEP_4) | instskip(NEXT) | instid1(VALU_DEP_2)
	v_add_co_ci_u32_e32 v5, vcc_lo, s4, v5, vcc_lo
	v_add_co_u32 v4, vcc_lo, v4, 8
	s_delay_alu instid0(VALU_DEP_2)
	v_add_co_ci_u32_e32 v5, vcc_lo, 0, v5, vcc_lo
	.p2align	6
.LBB10_14:                              ; =>This Inner Loop Header: Depth=1
	global_load_b128 v[10:13], v[4:5], off offset:-8
	s_add_u32 s4, s10, -8
	s_addc_u32 s5, s11, -1
	v_add_nc_u32_e32 v6, -1, v6
	s_load_b128 s[4:7], s[4:5], 0x0
	v_add_co_u32 v4, vcc_lo, v4, 16
	v_add_co_ci_u32_e32 v5, vcc_lo, 0, v5, vcc_lo
	s_delay_alu instid0(VALU_DEP_3) | instskip(SKIP_2) | instid1(VALU_DEP_1)
	v_cmp_eq_u32_e64 s2, 0, v6
	s_add_u32 s10, s10, s8
	s_addc_u32 s11, s11, s9
	s_or_b32 s12, s2, s12
	s_waitcnt vmcnt(0) lgkmcnt(0)
	v_mul_f64 v[14:15], s[6:7], v[12:13]
	v_mul_f64 v[12:13], s[4:5], v[12:13]
	s_delay_alu instid0(VALU_DEP_2) | instskip(NEXT) | instid1(VALU_DEP_2)
	v_fma_f64 v[14:15], s[4:5], v[10:11], -v[14:15]
	v_fma_f64 v[10:11], s[6:7], v[10:11], v[12:13]
	s_delay_alu instid0(VALU_DEP_2) | instskip(NEXT) | instid1(VALU_DEP_2)
	v_add_f64 v[0:1], v[0:1], v[14:15]
	v_add_f64 v[2:3], v[2:3], v[10:11]
	s_and_not1_b32 exec_lo, exec_lo, s12
	s_cbranch_execnz .LBB10_14
; %bb.15:
	s_or_b32 exec_lo, exec_lo, s12
.LBB10_16:
	s_delay_alu instid0(SALU_CYCLE_1) | instskip(SKIP_1) | instid1(VALU_DEP_1)
	s_or_b32 exec_lo, exec_lo, s3
	s_waitcnt vmcnt(0)
	v_dual_mov_b32 v7, v3 :: v_dual_mov_b32 v6, v2
	s_delay_alu instid0(VALU_DEP_3)
	v_dual_mov_b32 v5, v1 :: v_dual_mov_b32 v4, v0
.LBB10_17:
	s_load_b64 s[0:1], s[0:1], 0x48
	s_waitcnt vmcnt(0)
	v_lshlrev_b64 v[0:1], 4, v[8:9]
	s_waitcnt lgkmcnt(0)
	s_mul_i32 s1, s15, s1
	s_mul_hi_u32 s2, s15, s0
	s_mul_i32 s0, s15, s0
	s_add_i32 s1, s2, s1
	s_delay_alu instid0(SALU_CYCLE_1) | instskip(NEXT) | instid1(SALU_CYCLE_1)
	s_lshl_b64 s[0:1], s[0:1], 4
	s_add_u32 s0, s30, s0
	s_addc_u32 s1, s31, s1
	v_add_co_u32 v0, vcc_lo, s0, v0
	v_add_co_ci_u32_e32 v1, vcc_lo, s1, v1, vcc_lo
	global_store_b128 v[0:1], v[4:7], off
.LBB10_18:
	s_nop 0
	s_sendmsg sendmsg(MSG_DEALLOC_VGPRS)
	s_endpgm
	.section	.rodata,"a",@progbits
	.p2align	6, 0x0
	.amdhsa_kernel _ZL20rocblas_tpmvt_kernelILi512EPK19rocblas_complex_numIdEPS1_S4_EvbbiT0_llT1_lllT2_li
		.amdhsa_group_segment_fixed_size 0
		.amdhsa_private_segment_fixed_size 0
		.amdhsa_kernarg_size 344
		.amdhsa_user_sgpr_count 14
		.amdhsa_user_sgpr_dispatch_ptr 0
		.amdhsa_user_sgpr_queue_ptr 0
		.amdhsa_user_sgpr_kernarg_segment_ptr 1
		.amdhsa_user_sgpr_dispatch_id 0
		.amdhsa_user_sgpr_private_segment_size 0
		.amdhsa_wavefront_size32 1
		.amdhsa_uses_dynamic_stack 0
		.amdhsa_enable_private_segment 0
		.amdhsa_system_sgpr_workgroup_id_x 1
		.amdhsa_system_sgpr_workgroup_id_y 0
		.amdhsa_system_sgpr_workgroup_id_z 1
		.amdhsa_system_sgpr_workgroup_info 0
		.amdhsa_system_vgpr_workitem_id 0
		.amdhsa_next_free_vgpr 25
		.amdhsa_next_free_sgpr 32
		.amdhsa_reserve_vcc 1
		.amdhsa_float_round_mode_32 0
		.amdhsa_float_round_mode_16_64 0
		.amdhsa_float_denorm_mode_32 3
		.amdhsa_float_denorm_mode_16_64 3
		.amdhsa_dx10_clamp 1
		.amdhsa_ieee_mode 1
		.amdhsa_fp16_overflow 0
		.amdhsa_workgroup_processor_mode 1
		.amdhsa_memory_ordered 1
		.amdhsa_forward_progress 0
		.amdhsa_shared_vgpr_count 0
		.amdhsa_exception_fp_ieee_invalid_op 0
		.amdhsa_exception_fp_denorm_src 0
		.amdhsa_exception_fp_ieee_div_zero 0
		.amdhsa_exception_fp_ieee_overflow 0
		.amdhsa_exception_fp_ieee_underflow 0
		.amdhsa_exception_fp_ieee_inexact 0
		.amdhsa_exception_int_div_zero 0
	.end_amdhsa_kernel
	.section	.text._ZL20rocblas_tpmvt_kernelILi512EPK19rocblas_complex_numIdEPS1_S4_EvbbiT0_llT1_lllT2_li,"axG",@progbits,_ZL20rocblas_tpmvt_kernelILi512EPK19rocblas_complex_numIdEPS1_S4_EvbbiT0_llT1_lllT2_li,comdat
.Lfunc_end10:
	.size	_ZL20rocblas_tpmvt_kernelILi512EPK19rocblas_complex_numIdEPS1_S4_EvbbiT0_llT1_lllT2_li, .Lfunc_end10-_ZL20rocblas_tpmvt_kernelILi512EPK19rocblas_complex_numIdEPS1_S4_EvbbiT0_llT1_lllT2_li
                                        ; -- End function
	.section	.AMDGPU.csdata,"",@progbits
; Kernel info:
; codeLenInByte = 1456
; NumSgprs: 34
; NumVgprs: 25
; ScratchSize: 0
; MemoryBound: 0
; FloatMode: 240
; IeeeMode: 1
; LDSByteSize: 0 bytes/workgroup (compile time only)
; SGPRBlocks: 4
; VGPRBlocks: 3
; NumSGPRsForWavesPerEU: 34
; NumVGPRsForWavesPerEU: 25
; Occupancy: 16
; WaveLimiterHint : 0
; COMPUTE_PGM_RSRC2:SCRATCH_EN: 0
; COMPUTE_PGM_RSRC2:USER_SGPR: 14
; COMPUTE_PGM_RSRC2:TRAP_HANDLER: 0
; COMPUTE_PGM_RSRC2:TGID_X_EN: 1
; COMPUTE_PGM_RSRC2:TGID_Y_EN: 0
; COMPUTE_PGM_RSRC2:TGID_Z_EN: 1
; COMPUTE_PGM_RSRC2:TIDIG_COMP_CNT: 0
	.section	.text._ZL20rocblas_tpmvc_kernelILi512EPK19rocblas_complex_numIdEPS1_S4_EvbbiT0_llT1_lllT2_li,"axG",@progbits,_ZL20rocblas_tpmvc_kernelILi512EPK19rocblas_complex_numIdEPS1_S4_EvbbiT0_llT1_lllT2_li,comdat
	.globl	_ZL20rocblas_tpmvc_kernelILi512EPK19rocblas_complex_numIdEPS1_S4_EvbbiT0_llT1_lllT2_li ; -- Begin function _ZL20rocblas_tpmvc_kernelILi512EPK19rocblas_complex_numIdEPS1_S4_EvbbiT0_llT1_lllT2_li
	.p2align	8
	.type	_ZL20rocblas_tpmvc_kernelILi512EPK19rocblas_complex_numIdEPS1_S4_EvbbiT0_llT1_lllT2_li,@function
_ZL20rocblas_tpmvc_kernelILi512EPK19rocblas_complex_numIdEPS1_S4_EvbbiT0_llT1_lllT2_li: ; @_ZL20rocblas_tpmvc_kernelILi512EPK19rocblas_complex_numIdEPS1_S4_EvbbiT0_llT1_lllT2_li
; %bb.0:
	s_clause 0x1
	s_load_b32 s4, s[0:1], 0x64
	s_load_b64 s[2:3], s[0:1], 0x0
	s_waitcnt lgkmcnt(0)
	s_and_b32 s4, s4, 0xffff
	s_delay_alu instid0(SALU_CYCLE_1) | instskip(SKIP_1) | instid1(VALU_DEP_1)
	v_mad_u64_u32 v[8:9], null, s14, s4, v[0:1]
	s_mov_b32 s4, exec_lo
	v_cmpx_gt_i32_e64 s3, v8
	s_cbranch_execz .LBB11_18
; %bb.1:
	s_clause 0x1
	s_load_b32 s4, s[0:1], 0x0
	s_load_b512 s[16:31], s[0:1], 0x8
	v_ashrrev_i32_e32 v9, 31, v8
	s_waitcnt lgkmcnt(0)
	s_and_b32 s12, s4, 1
	s_mul_i32 s5, s15, s21
	s_mul_hi_u32 s6, s15, s20
	v_mul_lo_u32 v2, v8, s27
	v_mul_lo_u32 v3, v9, s26
	s_bitcmp1_b32 s2, 8
	v_mad_u64_u32 v[0:1], null, v8, s26, 0
	s_mul_i32 s4, s15, s20
	s_cselect_b32 s2, -1, 0
	s_add_i32 s5, s6, s5
	s_xor_b32 s20, s2, -1
	s_lshl_b64 s[4:5], s[4:5], 4
	s_mul_i32 s9, s15, s29
	s_add_u32 s2, s16, s4
	s_addc_u32 s11, s17, s5
	s_lshl_b64 s[6:7], s[18:19], 4
	s_mul_hi_u32 s10, s15, s28
	v_add3_u32 v1, v1, v2, v3
	s_add_u32 s14, s2, s6
	s_mul_i32 s8, s15, s28
	s_addc_u32 s18, s11, s7
	s_add_i32 s9, s10, s9
	v_lshlrev_b64 v[0:1], 4, v[0:1]
	s_lshl_b64 s[8:9], s[8:9], 4
	v_cndmask_b32_e64 v4, 0, 1, s20
	s_add_u32 s2, s22, s8
	s_addc_u32 s13, s23, s9
	s_lshl_b64 s[10:11], s[24:25], 4
	s_delay_alu instid0(SALU_CYCLE_1)
	s_add_u32 s2, s2, s10
	s_addc_u32 s13, s13, s11
	v_add_co_u32 v0, vcc_lo, s2, v0
	v_add_co_ci_u32_e32 v1, vcc_lo, s13, v1, vcc_lo
	v_cmp_ne_u32_e32 vcc_lo, 1, v4
	s_cmp_eq_u32 s12, 0
	s_mov_b32 s2, -1
	global_load_b128 v[0:3], v[0:1], off
	s_cbranch_scc0 .LBB11_9
; %bb.2:
	s_waitcnt vmcnt(0)
	v_dual_mov_b32 v5, v1 :: v_dual_mov_b32 v4, v0
	v_dual_mov_b32 v7, v3 :: v_dual_mov_b32 v6, v2
	s_and_b32 vcc_lo, exec_lo, vcc_lo
	s_cbranch_vccnz .LBB11_4
; %bb.3:
	v_add_co_u32 v6, vcc_lo, v8, -1
	v_add_co_ci_u32_e32 v4, vcc_lo, -1, v9, vcc_lo
	s_delay_alu instid0(VALU_DEP_2) | instskip(NEXT) | instid1(VALU_DEP_2)
	v_mul_lo_u32 v10, v6, v9
	v_mul_lo_u32 v7, v4, v8
	v_mad_u64_u32 v[4:5], null, v6, v8, 0
	s_delay_alu instid0(VALU_DEP_1) | instskip(SKIP_1) | instid1(VALU_DEP_2)
	v_add3_u32 v5, v5, v10, v7
	v_mad_i64_i32 v[6:7], null, v8, s3, 0
	v_lshrrev_b64 v[4:5], 1, v[4:5]
	s_delay_alu instid0(VALU_DEP_1) | instskip(NEXT) | instid1(VALU_DEP_2)
	v_sub_co_u32 v4, vcc_lo, v6, v4
	v_sub_co_ci_u32_e32 v5, vcc_lo, v7, v5, vcc_lo
	s_delay_alu instid0(VALU_DEP_1) | instskip(NEXT) | instid1(VALU_DEP_1)
	v_lshlrev_b64 v[4:5], 4, v[4:5]
	v_add_co_u32 v4, vcc_lo, s14, v4
	s_delay_alu instid0(VALU_DEP_2) | instskip(SKIP_4) | instid1(VALU_DEP_2)
	v_add_co_ci_u32_e32 v5, vcc_lo, s18, v5, vcc_lo
	global_load_b128 v[10:13], v[4:5], off
	s_waitcnt vmcnt(0)
	v_mul_f64 v[4:5], v[2:3], v[12:13]
	v_mul_f64 v[6:7], v[0:1], v[12:13]
	v_fma_f64 v[4:5], v[0:1], v[10:11], v[4:5]
	s_delay_alu instid0(VALU_DEP_2)
	v_fma_f64 v[6:7], v[2:3], v[10:11], -v[6:7]
.LBB11_4:
	v_add_nc_u32_e32 v10, 1, v8
	s_mov_b32 s19, exec_lo
	s_delay_alu instid0(VALU_DEP_1)
	v_cmpx_gt_i32_e64 s3, v10
	s_cbranch_execz .LBB11_8
; %bb.5:
	v_add_co_u32 v11, vcc_lo, v8, -1
	v_add_co_ci_u32_e32 v12, vcc_lo, -1, v9, vcc_lo
	s_ashr_i32 s13, s3, 31
	s_delay_alu instid0(VALU_DEP_2) | instskip(SKIP_1) | instid1(VALU_DEP_2)
	v_mul_lo_u32 v15, v11, v9
	s_mov_b32 s12, s3
	v_mul_lo_u32 v14, v12, v8
	v_mad_u64_u32 v[12:13], null, v11, v8, 0
	s_lshl_b64 s[12:13], s[12:13], 4
	v_ashrrev_i32_e32 v11, 31, v10
	s_add_u32 s2, s12, -16
	s_addc_u32 s21, s13, -1
	s_add_u32 s12, s6, s4
	s_addc_u32 s13, s7, s5
	s_delay_alu instid0(VALU_DEP_2) | instskip(SKIP_3) | instid1(VALU_DEP_4)
	v_add3_u32 v13, v13, v15, v14
	v_mad_u64_u32 v[14:15], null, s2, v8, s[12:13]
	v_mul_lo_u32 v18, s2, v9
	v_mul_lo_u32 v19, s21, v8
	v_lshlrev_b64 v[12:13], 3, v[12:13]
	v_lshlrev_b64 v[16:17], 4, v[10:11]
	v_mul_lo_u32 v20, s26, v11
	s_add_u32 s2, s22, s10
	s_addc_u32 s12, s23, s11
	s_add_u32 s2, s2, s8
	s_addc_u32 s12, s12, s9
	v_add3_u32 v15, v19, v15, v18
	v_and_b32_e32 v18, -16, v12
	v_mul_lo_u32 v19, s27, v10
	v_mad_u64_u32 v[11:12], null, s26, v10, 0
	v_add_co_u32 v14, vcc_lo, v14, v16
	v_add_co_ci_u32_e32 v15, vcc_lo, v15, v17, vcc_lo
	s_mov_b32 s21, 0
	s_delay_alu instid0(VALU_DEP_2) | instskip(NEXT) | instid1(VALU_DEP_4)
	v_sub_co_u32 v14, vcc_lo, v14, v18
	v_add3_u32 v12, v12, v20, v19
	s_delay_alu instid0(VALU_DEP_3) | instskip(NEXT) | instid1(VALU_DEP_3)
	v_sub_co_ci_u32_e32 v13, vcc_lo, v15, v13, vcc_lo
	v_add_co_u32 v14, vcc_lo, v14, s16
	s_delay_alu instid0(VALU_DEP_3) | instskip(NEXT) | instid1(VALU_DEP_3)
	v_lshlrev_b64 v[11:12], 4, v[11:12]
	v_add_co_ci_u32_e32 v13, vcc_lo, s17, v13, vcc_lo
	s_delay_alu instid0(VALU_DEP_2) | instskip(NEXT) | instid1(VALU_DEP_3)
	v_add_co_u32 v15, vcc_lo, s2, v11
	v_add_co_ci_u32_e32 v16, vcc_lo, s12, v12, vcc_lo
	v_add_co_u32 v11, vcc_lo, v14, 8
	s_delay_alu instid0(VALU_DEP_4) | instskip(NEXT) | instid1(VALU_DEP_4)
	v_add_co_ci_u32_e32 v12, vcc_lo, 0, v13, vcc_lo
	v_add_co_u32 v13, vcc_lo, v15, 8
	s_delay_alu instid0(VALU_DEP_4)
	v_add_co_ci_u32_e32 v14, vcc_lo, 0, v16, vcc_lo
	s_lshl_b64 s[12:13], s[26:27], 4
	.p2align	6
.LBB11_6:                               ; =>This Inner Loop Header: Depth=1
	global_load_b128 v[15:18], v[11:12], off offset:-8
	global_load_b128 v[19:22], v[13:14], off offset:-8
	v_add_nc_u32_e32 v10, 1, v10
	v_add_co_u32 v11, vcc_lo, v11, 16
	v_add_co_ci_u32_e32 v12, vcc_lo, 0, v12, vcc_lo
	s_delay_alu instid0(VALU_DEP_3) | instskip(SKIP_1) | instid1(VALU_DEP_1)
	v_cmp_le_i32_e32 vcc_lo, s3, v10
	v_add_co_u32 v13, s2, v13, s12
	v_add_co_ci_u32_e64 v14, s2, s13, v14, s2
	s_or_b32 s21, vcc_lo, s21
	s_waitcnt vmcnt(0)
	v_mul_f64 v[23:24], v[17:18], v[21:22]
	v_mul_f64 v[17:18], v[17:18], v[19:20]
	s_delay_alu instid0(VALU_DEP_2) | instskip(NEXT) | instid1(VALU_DEP_2)
	v_fma_f64 v[19:20], v[15:16], v[19:20], v[23:24]
	v_fma_f64 v[15:16], v[15:16], v[21:22], -v[17:18]
	s_delay_alu instid0(VALU_DEP_2) | instskip(NEXT) | instid1(VALU_DEP_2)
	v_add_f64 v[4:5], v[4:5], v[19:20]
	v_add_f64 v[6:7], v[6:7], v[15:16]
	s_and_not1_b32 exec_lo, exec_lo, s21
	s_cbranch_execnz .LBB11_6
; %bb.7:
	s_or_b32 exec_lo, exec_lo, s21
.LBB11_8:
	s_delay_alu instid0(SALU_CYCLE_1)
	s_or_b32 exec_lo, exec_lo, s19
	s_branch .LBB11_17
.LBB11_9:
                                        ; implicit-def: $vgpr6_vgpr7
	s_and_b32 vcc_lo, exec_lo, s2
	s_cbranch_vccz .LBB11_17
; %bb.10:
	v_add_nc_u32_e32 v4, 1, v8
	s_and_not1_b32 vcc_lo, exec_lo, s20
	s_cbranch_vccnz .LBB11_12
; %bb.11:
	s_delay_alu instid0(VALU_DEP_1) | instskip(SKIP_1) | instid1(VALU_DEP_2)
	v_mad_i64_i32 v[5:6], null, v4, v8, 0
	v_lshlrev_b64 v[10:11], 4, v[8:9]
	v_lshlrev_b64 v[5:6], 3, v[5:6]
	s_delay_alu instid0(VALU_DEP_1) | instskip(NEXT) | instid1(VALU_DEP_1)
	v_and_b32_e32 v5, -16, v5
	v_add_co_u32 v5, vcc_lo, s14, v5
	s_delay_alu instid0(VALU_DEP_3) | instskip(NEXT) | instid1(VALU_DEP_2)
	v_add_co_ci_u32_e32 v6, vcc_lo, s18, v6, vcc_lo
	v_add_co_u32 v5, vcc_lo, v5, v10
	s_delay_alu instid0(VALU_DEP_2) | instskip(SKIP_4) | instid1(VALU_DEP_2)
	v_add_co_ci_u32_e32 v6, vcc_lo, v6, v11, vcc_lo
	global_load_b128 v[10:13], v[5:6], off
	s_waitcnt vmcnt(0)
	v_mul_f64 v[5:6], v[2:3], v[12:13]
	v_mul_f64 v[12:13], v[0:1], v[12:13]
	v_fma_f64 v[0:1], v[0:1], v[10:11], v[5:6]
	s_delay_alu instid0(VALU_DEP_2)
	v_fma_f64 v[2:3], v[2:3], v[10:11], -v[12:13]
.LBB11_12:
	s_mov_b32 s12, 0
	s_mov_b32 s3, exec_lo
	v_cmpx_lt_i32_e32 0, v8
	s_cbranch_execz .LBB11_16
; %bb.13:
	v_mad_u64_u32 v[5:6], null, v4, v8, 0
	s_add_u32 s2, s8, s10
	s_addc_u32 s8, s9, s11
	s_add_u32 s2, s2, s22
	s_addc_u32 s8, s8, s23
	;; [unrolled: 2-line block ×3, first 2 shown]
	s_delay_alu instid0(VALU_DEP_1)
	v_mad_u64_u32 v[10:11], null, v4, v9, v[6:7]
	s_lshl_b64 s[8:9], s[26:27], 4
	s_add_u32 s2, s4, s6
	s_addc_u32 s4, s5, s7
	s_add_u32 s2, s16, s2
	s_addc_u32 s4, s17, s4
	s_delay_alu instid0(VALU_DEP_1) | instskip(NEXT) | instid1(VALU_DEP_1)
	v_mov_b32_e32 v6, v10
	v_lshlrev_b64 v[4:5], 3, v[5:6]
	v_mov_b32_e32 v6, v8
	s_delay_alu instid0(VALU_DEP_2) | instskip(NEXT) | instid1(VALU_DEP_1)
	v_and_b32_e32 v4, -16, v4
	v_add_co_u32 v4, vcc_lo, s2, v4
	s_delay_alu instid0(VALU_DEP_4) | instskip(NEXT) | instid1(VALU_DEP_2)
	v_add_co_ci_u32_e32 v5, vcc_lo, s4, v5, vcc_lo
	v_add_co_u32 v4, vcc_lo, v4, 8
	s_delay_alu instid0(VALU_DEP_2)
	v_add_co_ci_u32_e32 v5, vcc_lo, 0, v5, vcc_lo
	.p2align	6
.LBB11_14:                              ; =>This Inner Loop Header: Depth=1
	global_load_b128 v[10:13], v[4:5], off offset:-8
	s_add_u32 s4, s10, -8
	s_addc_u32 s5, s11, -1
	v_add_nc_u32_e32 v6, -1, v6
	s_load_b128 s[4:7], s[4:5], 0x0
	v_add_co_u32 v4, vcc_lo, v4, 16
	v_add_co_ci_u32_e32 v5, vcc_lo, 0, v5, vcc_lo
	s_delay_alu instid0(VALU_DEP_3) | instskip(SKIP_2) | instid1(VALU_DEP_1)
	v_cmp_eq_u32_e64 s2, 0, v6
	s_add_u32 s10, s10, s8
	s_addc_u32 s11, s11, s9
	s_or_b32 s12, s2, s12
	s_waitcnt vmcnt(0) lgkmcnt(0)
	v_mul_f64 v[14:15], v[12:13], s[6:7]
	v_mul_f64 v[12:13], v[12:13], s[4:5]
	s_delay_alu instid0(VALU_DEP_2) | instskip(NEXT) | instid1(VALU_DEP_2)
	v_fma_f64 v[14:15], v[10:11], s[4:5], v[14:15]
	v_fma_f64 v[10:11], v[10:11], s[6:7], -v[12:13]
	s_delay_alu instid0(VALU_DEP_2) | instskip(NEXT) | instid1(VALU_DEP_2)
	v_add_f64 v[0:1], v[0:1], v[14:15]
	v_add_f64 v[2:3], v[2:3], v[10:11]
	s_and_not1_b32 exec_lo, exec_lo, s12
	s_cbranch_execnz .LBB11_14
; %bb.15:
	s_or_b32 exec_lo, exec_lo, s12
.LBB11_16:
	s_delay_alu instid0(SALU_CYCLE_1) | instskip(SKIP_1) | instid1(VALU_DEP_1)
	s_or_b32 exec_lo, exec_lo, s3
	s_waitcnt vmcnt(0)
	v_dual_mov_b32 v7, v3 :: v_dual_mov_b32 v6, v2
	s_delay_alu instid0(VALU_DEP_3)
	v_dual_mov_b32 v5, v1 :: v_dual_mov_b32 v4, v0
.LBB11_17:
	s_load_b64 s[0:1], s[0:1], 0x48
	s_waitcnt vmcnt(0)
	v_lshlrev_b64 v[0:1], 4, v[8:9]
	s_waitcnt lgkmcnt(0)
	s_mul_i32 s1, s15, s1
	s_mul_hi_u32 s2, s15, s0
	s_mul_i32 s0, s15, s0
	s_add_i32 s1, s2, s1
	s_delay_alu instid0(SALU_CYCLE_1) | instskip(NEXT) | instid1(SALU_CYCLE_1)
	s_lshl_b64 s[0:1], s[0:1], 4
	s_add_u32 s0, s30, s0
	s_addc_u32 s1, s31, s1
	v_add_co_u32 v0, vcc_lo, s0, v0
	v_add_co_ci_u32_e32 v1, vcc_lo, s1, v1, vcc_lo
	global_store_b128 v[0:1], v[4:7], off
.LBB11_18:
	s_nop 0
	s_sendmsg sendmsg(MSG_DEALLOC_VGPRS)
	s_endpgm
	.section	.rodata,"a",@progbits
	.p2align	6, 0x0
	.amdhsa_kernel _ZL20rocblas_tpmvc_kernelILi512EPK19rocblas_complex_numIdEPS1_S4_EvbbiT0_llT1_lllT2_li
		.amdhsa_group_segment_fixed_size 0
		.amdhsa_private_segment_fixed_size 0
		.amdhsa_kernarg_size 344
		.amdhsa_user_sgpr_count 14
		.amdhsa_user_sgpr_dispatch_ptr 0
		.amdhsa_user_sgpr_queue_ptr 0
		.amdhsa_user_sgpr_kernarg_segment_ptr 1
		.amdhsa_user_sgpr_dispatch_id 0
		.amdhsa_user_sgpr_private_segment_size 0
		.amdhsa_wavefront_size32 1
		.amdhsa_uses_dynamic_stack 0
		.amdhsa_enable_private_segment 0
		.amdhsa_system_sgpr_workgroup_id_x 1
		.amdhsa_system_sgpr_workgroup_id_y 0
		.amdhsa_system_sgpr_workgroup_id_z 1
		.amdhsa_system_sgpr_workgroup_info 0
		.amdhsa_system_vgpr_workitem_id 0
		.amdhsa_next_free_vgpr 25
		.amdhsa_next_free_sgpr 32
		.amdhsa_reserve_vcc 1
		.amdhsa_float_round_mode_32 0
		.amdhsa_float_round_mode_16_64 0
		.amdhsa_float_denorm_mode_32 3
		.amdhsa_float_denorm_mode_16_64 3
		.amdhsa_dx10_clamp 1
		.amdhsa_ieee_mode 1
		.amdhsa_fp16_overflow 0
		.amdhsa_workgroup_processor_mode 1
		.amdhsa_memory_ordered 1
		.amdhsa_forward_progress 0
		.amdhsa_shared_vgpr_count 0
		.amdhsa_exception_fp_ieee_invalid_op 0
		.amdhsa_exception_fp_denorm_src 0
		.amdhsa_exception_fp_ieee_div_zero 0
		.amdhsa_exception_fp_ieee_overflow 0
		.amdhsa_exception_fp_ieee_underflow 0
		.amdhsa_exception_fp_ieee_inexact 0
		.amdhsa_exception_int_div_zero 0
	.end_amdhsa_kernel
	.section	.text._ZL20rocblas_tpmvc_kernelILi512EPK19rocblas_complex_numIdEPS1_S4_EvbbiT0_llT1_lllT2_li,"axG",@progbits,_ZL20rocblas_tpmvc_kernelILi512EPK19rocblas_complex_numIdEPS1_S4_EvbbiT0_llT1_lllT2_li,comdat
.Lfunc_end11:
	.size	_ZL20rocblas_tpmvc_kernelILi512EPK19rocblas_complex_numIdEPS1_S4_EvbbiT0_llT1_lllT2_li, .Lfunc_end11-_ZL20rocblas_tpmvc_kernelILi512EPK19rocblas_complex_numIdEPS1_S4_EvbbiT0_llT1_lllT2_li
                                        ; -- End function
	.section	.AMDGPU.csdata,"",@progbits
; Kernel info:
; codeLenInByte = 1456
; NumSgprs: 34
; NumVgprs: 25
; ScratchSize: 0
; MemoryBound: 0
; FloatMode: 240
; IeeeMode: 1
; LDSByteSize: 0 bytes/workgroup (compile time only)
; SGPRBlocks: 4
; VGPRBlocks: 3
; NumSGPRsForWavesPerEU: 34
; NumVGPRsForWavesPerEU: 25
; Occupancy: 16
; WaveLimiterHint : 0
; COMPUTE_PGM_RSRC2:SCRATCH_EN: 0
; COMPUTE_PGM_RSRC2:USER_SGPR: 14
; COMPUTE_PGM_RSRC2:TRAP_HANDLER: 0
; COMPUTE_PGM_RSRC2:TGID_X_EN: 1
; COMPUTE_PGM_RSRC2:TGID_Y_EN: 0
; COMPUTE_PGM_RSRC2:TGID_Z_EN: 1
; COMPUTE_PGM_RSRC2:TIDIG_COMP_CNT: 0
	.section	.text._ZL20rocblas_tpmvn_kernelILi512EPKPKfPKPfS4_EvbbiT0_llT1_lllT2_li,"axG",@progbits,_ZL20rocblas_tpmvn_kernelILi512EPKPKfPKPfS4_EvbbiT0_llT1_lllT2_li,comdat
	.globl	_ZL20rocblas_tpmvn_kernelILi512EPKPKfPKPfS4_EvbbiT0_llT1_lllT2_li ; -- Begin function _ZL20rocblas_tpmvn_kernelILi512EPKPKfPKPfS4_EvbbiT0_llT1_lllT2_li
	.p2align	8
	.type	_ZL20rocblas_tpmvn_kernelILi512EPKPKfPKPfS4_EvbbiT0_llT1_lllT2_li,@function
_ZL20rocblas_tpmvn_kernelILi512EPKPKfPKPfS4_EvbbiT0_llT1_lllT2_li: ; @_ZL20rocblas_tpmvn_kernelILi512EPKPKfPKPfS4_EvbbiT0_llT1_lllT2_li
; %bb.0:
	s_clause 0x1
	s_load_b32 s5, s[0:1], 0x64
	s_load_b64 s[2:3], s[0:1], 0x0
	s_waitcnt lgkmcnt(0)
	s_and_b32 s5, s5, 0xffff
	s_delay_alu instid0(SALU_CYCLE_1) | instskip(SKIP_1) | instid1(VALU_DEP_1)
	v_mad_u64_u32 v[1:2], null, s14, s5, v[0:1]
	s_mov_b32 s5, exec_lo
	v_cmpx_gt_i32_e64 s3, v1
	s_cbranch_execz .LBB12_18
; %bb.1:
	s_clause 0x1
	s_load_b32 s5, s[0:1], 0x0
	s_load_b128 s[8:11], s[0:1], 0x8
	s_mov_b32 s4, s15
	v_ashrrev_i32_e32 v2, 31, v1
	s_mov_b32 s23, -1
	s_waitcnt lgkmcnt(0)
	s_and_b32 s18, s5, 1
	s_bitcmp1_b32 s2, 8
	s_mov_b32 s5, 0
	s_cselect_b32 s2, -1, 0
	s_lshl_b64 s[12:13], s[4:5], 3
	s_xor_b32 s22, s2, -1
	s_add_u32 s6, s8, s12
	s_addc_u32 s7, s9, s13
	s_lshl_b64 s[16:17], s[10:11], 2
	s_load_b64 s[14:15], s[6:7], 0x0
	s_clause 0x1
	s_load_b128 s[24:27], s[0:1], 0x20
	s_load_b64 s[6:7], s[0:1], 0x30
	s_waitcnt lgkmcnt(0)
	s_add_u32 s2, s14, s16
	s_addc_u32 s5, s15, s17
	s_add_u32 s8, s24, s12
	s_addc_u32 s9, s25, s13
	v_mul_lo_u32 v0, v1, s7
	s_load_b64 s[8:9], s[8:9], 0x0
	v_mul_lo_u32 v5, v2, s6
	v_mad_u64_u32 v[3:4], null, v1, s6, 0
	s_lshl_b64 s[10:11], s[26:27], 2
	s_delay_alu instid0(VALU_DEP_1) | instskip(NEXT) | instid1(VALU_DEP_1)
	v_add3_u32 v4, v4, v0, v5
	v_lshlrev_b64 v[3:4], 2, v[3:4]
	s_waitcnt lgkmcnt(0)
	s_add_u32 s12, s8, s10
	s_addc_u32 s13, s9, s11
	s_delay_alu instid0(VALU_DEP_1) | instskip(NEXT) | instid1(VALU_DEP_2)
	v_add_co_u32 v3, vcc_lo, s12, v3
	v_add_co_ci_u32_e32 v4, vcc_lo, s13, v4, vcc_lo
	s_cmp_eq_u32 s18, 0
	global_load_b32 v0, v[3:4], off
	v_cndmask_b32_e64 v3, 0, 1, s22
	s_delay_alu instid0(VALU_DEP_1)
	v_cmp_ne_u32_e32 vcc_lo, 1, v3
	s_cbranch_scc0 .LBB12_9
; %bb.2:
	s_waitcnt vmcnt(0)
	v_mov_b32_e32 v3, v0
	s_and_b32 vcc_lo, exec_lo, vcc_lo
	s_cbranch_vccnz .LBB12_4
; %bb.3:
	v_add_co_u32 v5, vcc_lo, v1, -1
	v_add_co_ci_u32_e32 v3, vcc_lo, -1, v2, vcc_lo
	s_delay_alu instid0(VALU_DEP_2) | instskip(NEXT) | instid1(VALU_DEP_2)
	v_mul_lo_u32 v7, v5, v2
	v_mul_lo_u32 v6, v3, v1
	v_mad_u64_u32 v[3:4], null, v5, v1, 0
	s_delay_alu instid0(VALU_DEP_1) | instskip(SKIP_1) | instid1(VALU_DEP_2)
	v_add3_u32 v4, v4, v7, v6
	v_mad_i64_i32 v[5:6], null, v1, s3, 0
	v_lshrrev_b64 v[3:4], 1, v[3:4]
	s_delay_alu instid0(VALU_DEP_1) | instskip(NEXT) | instid1(VALU_DEP_2)
	v_sub_co_u32 v3, vcc_lo, v5, v3
	v_sub_co_ci_u32_e32 v4, vcc_lo, v6, v4, vcc_lo
	s_delay_alu instid0(VALU_DEP_1) | instskip(NEXT) | instid1(VALU_DEP_1)
	v_lshlrev_b64 v[3:4], 2, v[3:4]
	v_add_co_u32 v3, vcc_lo, s2, v3
	s_delay_alu instid0(VALU_DEP_2)
	v_add_co_ci_u32_e32 v4, vcc_lo, s5, v4, vcc_lo
	global_load_b32 v3, v[3:4], off
	s_waitcnt vmcnt(0)
	v_mul_f32_e32 v3, v0, v3
.LBB12_4:
	s_mov_b32 s23, 0
	s_mov_b32 s24, exec_lo
	v_cmpx_lt_i32_e32 0, v1
	s_cbranch_execz .LBB12_8
; %bb.5:
	v_lshlrev_b64 v[4:5], 2, v[1:2]
	s_ashr_i32 s19, s3, 31
	s_add_u32 s16, s14, s16
	s_mov_b32 s18, s3
	s_addc_u32 s17, s15, s17
	s_lshl_b64 s[14:15], s[18:19], 2
	v_add_co_u32 v4, vcc_lo, s16, v4
	v_add_co_ci_u32_e32 v5, vcc_lo, s17, v5, vcc_lo
	s_add_u32 s25, s14, -4
	s_addc_u32 s26, s15, -1
	s_lshl_b64 s[14:15], s[6:7], 2
	s_mov_b64 s[16:17], 0
	s_mov_b32 s27, 0
	s_mov_b64 s[20:21], 0
	s_mov_b64 s[18:19], 0
	.p2align	6
.LBB12_6:                               ; =>This Inner Loop Header: Depth=1
	s_lshl_b64 s[28:29], s[16:17], 1
	s_load_b32 s30, s[12:13], 0x0
	s_and_b32 s28, s28, -4
	s_add_u32 s18, s18, 1
	v_sub_co_u32 v6, vcc_lo, v4, s28
	v_subrev_co_ci_u32_e32 v7, vcc_lo, s29, v5, vcc_lo
	v_add_co_u32 v4, vcc_lo, v4, s25
	s_addc_u32 s19, s19, 0
	global_load_b32 v6, v[6:7], off
	v_add_co_ci_u32_e32 v5, vcc_lo, s26, v5, vcc_lo
	s_add_u32 s28, s20, 2
	v_cmp_eq_u32_e32 vcc_lo, s18, v1
	s_addc_u32 s29, s21, 0
	s_add_u32 s16, s16, s20
	s_addc_u32 s17, s17, s21
	s_add_u32 s12, s12, s14
	s_addc_u32 s13, s13, s15
	s_or_b32 s27, vcc_lo, s27
	s_mov_b64 s[20:21], s[28:29]
	s_waitcnt vmcnt(0) lgkmcnt(0)
	v_fmac_f32_e32 v3, s30, v6
	s_and_not1_b32 exec_lo, exec_lo, s27
	s_cbranch_execnz .LBB12_6
; %bb.7:
	s_or_b32 exec_lo, exec_lo, s27
.LBB12_8:
	s_delay_alu instid0(SALU_CYCLE_1) | instskip(NEXT) | instid1(SALU_CYCLE_1)
	s_or_b32 exec_lo, exec_lo, s24
	s_and_b32 vcc_lo, exec_lo, s23
	s_cbranch_vccnz .LBB12_10
	s_branch .LBB12_17
.LBB12_9:
                                        ; implicit-def: $vgpr3
	s_and_b32 vcc_lo, exec_lo, s23
	s_cbranch_vccz .LBB12_17
.LBB12_10:
	v_add_nc_u32_e32 v3, 1, v1
	s_and_not1_b32 vcc_lo, exec_lo, s22
	s_cbranch_vccnz .LBB12_12
; %bb.11:
	s_delay_alu instid0(VALU_DEP_1) | instskip(SKIP_1) | instid1(VALU_DEP_2)
	v_mad_i64_i32 v[4:5], null, v3, v1, 0
	v_lshlrev_b64 v[6:7], 2, v[1:2]
	v_lshlrev_b64 v[4:5], 1, v[4:5]
	s_delay_alu instid0(VALU_DEP_1) | instskip(NEXT) | instid1(VALU_DEP_1)
	v_and_b32_e32 v4, -4, v4
	v_add_co_u32 v4, vcc_lo, s2, v4
	s_delay_alu instid0(VALU_DEP_3) | instskip(NEXT) | instid1(VALU_DEP_2)
	v_add_co_ci_u32_e32 v5, vcc_lo, s5, v5, vcc_lo
	v_add_co_u32 v4, vcc_lo, v4, v6
	s_delay_alu instid0(VALU_DEP_2)
	v_add_co_ci_u32_e32 v5, vcc_lo, v5, v7, vcc_lo
	global_load_b32 v4, v[4:5], off
	s_waitcnt vmcnt(0)
	v_mul_f32_e32 v0, v0, v4
.LBB12_12:
	s_mov_b32 s12, exec_lo
	s_delay_alu instid0(VALU_DEP_1)
	v_cmpx_gt_i32_e64 s3, v3
	s_cbranch_execz .LBB12_16
; %bb.13:
	v_ashrrev_i32_e32 v4, 31, v3
	v_mul_lo_u32 v8, s7, v3
	v_mad_u64_u32 v[5:6], null, s6, v3, 0
	v_add_nc_u32_e32 v7, 2, v1
	s_delay_alu instid0(VALU_DEP_4) | instskip(SKIP_3) | instid1(VALU_DEP_1)
	v_mul_lo_u32 v9, s6, v4
	s_add_u32 s8, s8, s10
	s_addc_u32 s9, s9, s11
	s_lshl_b64 s[6:7], s[6:7], 2
	v_add3_u32 v6, v6, v9, v8
	v_lshlrev_b64 v[9:10], 2, v[1:2]
	v_ashrrev_i32_e32 v8, 31, v7
	s_delay_alu instid0(VALU_DEP_3) | instskip(NEXT) | instid1(VALU_DEP_3)
	v_lshlrev_b64 v[5:6], 2, v[5:6]
	v_add_co_u32 v9, vcc_lo, s2, v9
	s_delay_alu instid0(VALU_DEP_4) | instskip(NEXT) | instid1(VALU_DEP_3)
	v_add_co_ci_u32_e32 v10, vcc_lo, s5, v10, vcc_lo
	v_add_co_u32 v5, vcc_lo, s8, v5
	s_delay_alu instid0(VALU_DEP_4)
	v_add_co_ci_u32_e32 v6, vcc_lo, s9, v6, vcc_lo
	s_mov_b32 s5, 0
	s_set_inst_prefetch_distance 0x1
	.p2align	6
.LBB12_14:                              ; =>This Inner Loop Header: Depth=1
	v_mul_lo_u32 v13, v8, v3
	v_mul_lo_u32 v14, v7, v4
	v_mad_u64_u32 v[11:12], null, v7, v3, 0
	s_delay_alu instid0(VALU_DEP_1) | instskip(NEXT) | instid1(VALU_DEP_1)
	v_add3_u32 v12, v12, v14, v13
	v_lshlrev_b64 v[11:12], 1, v[11:12]
	s_delay_alu instid0(VALU_DEP_1) | instskip(NEXT) | instid1(VALU_DEP_1)
	v_and_b32_e32 v11, -4, v11
	v_add_co_u32 v11, vcc_lo, v9, v11
	s_delay_alu instid0(VALU_DEP_3)
	v_add_co_ci_u32_e32 v12, vcc_lo, v10, v12, vcc_lo
	global_load_b32 v13, v[5:6], off
	global_load_b32 v11, v[11:12], off
	v_add_co_u32 v3, vcc_lo, v3, 1
	v_add_co_ci_u32_e32 v4, vcc_lo, 0, v4, vcc_lo
	v_add_co_u32 v7, vcc_lo, v7, 1
	v_add_co_ci_u32_e32 v8, vcc_lo, 0, v8, vcc_lo
	v_add_co_u32 v5, vcc_lo, v5, s6
	v_cmp_le_i32_e64 s2, s3, v3
	v_add_co_ci_u32_e32 v6, vcc_lo, s7, v6, vcc_lo
	s_delay_alu instid0(VALU_DEP_2)
	s_or_b32 s5, s2, s5
	s_waitcnt vmcnt(0)
	v_fmac_f32_e32 v0, v11, v13
	s_and_not1_b32 exec_lo, exec_lo, s5
	s_cbranch_execnz .LBB12_14
; %bb.15:
	s_set_inst_prefetch_distance 0x2
	s_or_b32 exec_lo, exec_lo, s5
.LBB12_16:
	s_delay_alu instid0(SALU_CYCLE_1)
	s_or_b32 exec_lo, exec_lo, s12
	s_waitcnt vmcnt(0)
	v_mov_b32_e32 v3, v0
.LBB12_17:
	s_load_b128 s[0:3], s[0:1], 0x40
	s_waitcnt vmcnt(0)
	v_lshlrev_b64 v[0:1], 2, v[1:2]
	s_waitcnt lgkmcnt(0)
	s_mul_i32 s3, s4, s3
	s_mul_hi_u32 s5, s4, s2
	s_mul_i32 s2, s4, s2
	s_add_i32 s3, s5, s3
	s_delay_alu instid0(SALU_CYCLE_1) | instskip(NEXT) | instid1(SALU_CYCLE_1)
	s_lshl_b64 s[2:3], s[2:3], 2
	s_add_u32 s0, s0, s2
	s_addc_u32 s1, s1, s3
	v_add_co_u32 v0, vcc_lo, s0, v0
	v_add_co_ci_u32_e32 v1, vcc_lo, s1, v1, vcc_lo
	global_store_b32 v[0:1], v3, off
.LBB12_18:
	s_nop 0
	s_sendmsg sendmsg(MSG_DEALLOC_VGPRS)
	s_endpgm
	.section	.rodata,"a",@progbits
	.p2align	6, 0x0
	.amdhsa_kernel _ZL20rocblas_tpmvn_kernelILi512EPKPKfPKPfS4_EvbbiT0_llT1_lllT2_li
		.amdhsa_group_segment_fixed_size 0
		.amdhsa_private_segment_fixed_size 0
		.amdhsa_kernarg_size 344
		.amdhsa_user_sgpr_count 14
		.amdhsa_user_sgpr_dispatch_ptr 0
		.amdhsa_user_sgpr_queue_ptr 0
		.amdhsa_user_sgpr_kernarg_segment_ptr 1
		.amdhsa_user_sgpr_dispatch_id 0
		.amdhsa_user_sgpr_private_segment_size 0
		.amdhsa_wavefront_size32 1
		.amdhsa_uses_dynamic_stack 0
		.amdhsa_enable_private_segment 0
		.amdhsa_system_sgpr_workgroup_id_x 1
		.amdhsa_system_sgpr_workgroup_id_y 0
		.amdhsa_system_sgpr_workgroup_id_z 1
		.amdhsa_system_sgpr_workgroup_info 0
		.amdhsa_system_vgpr_workitem_id 0
		.amdhsa_next_free_vgpr 15
		.amdhsa_next_free_sgpr 31
		.amdhsa_reserve_vcc 1
		.amdhsa_float_round_mode_32 0
		.amdhsa_float_round_mode_16_64 0
		.amdhsa_float_denorm_mode_32 3
		.amdhsa_float_denorm_mode_16_64 3
		.amdhsa_dx10_clamp 1
		.amdhsa_ieee_mode 1
		.amdhsa_fp16_overflow 0
		.amdhsa_workgroup_processor_mode 1
		.amdhsa_memory_ordered 1
		.amdhsa_forward_progress 0
		.amdhsa_shared_vgpr_count 0
		.amdhsa_exception_fp_ieee_invalid_op 0
		.amdhsa_exception_fp_denorm_src 0
		.amdhsa_exception_fp_ieee_div_zero 0
		.amdhsa_exception_fp_ieee_overflow 0
		.amdhsa_exception_fp_ieee_underflow 0
		.amdhsa_exception_fp_ieee_inexact 0
		.amdhsa_exception_int_div_zero 0
	.end_amdhsa_kernel
	.section	.text._ZL20rocblas_tpmvn_kernelILi512EPKPKfPKPfS4_EvbbiT0_llT1_lllT2_li,"axG",@progbits,_ZL20rocblas_tpmvn_kernelILi512EPKPKfPKPfS4_EvbbiT0_llT1_lllT2_li,comdat
.Lfunc_end12:
	.size	_ZL20rocblas_tpmvn_kernelILi512EPKPKfPKPfS4_EvbbiT0_llT1_lllT2_li, .Lfunc_end12-_ZL20rocblas_tpmvn_kernelILi512EPKPKfPKPfS4_EvbbiT0_llT1_lllT2_li
                                        ; -- End function
	.section	.AMDGPU.csdata,"",@progbits
; Kernel info:
; codeLenInByte = 1164
; NumSgprs: 33
; NumVgprs: 15
; ScratchSize: 0
; MemoryBound: 0
; FloatMode: 240
; IeeeMode: 1
; LDSByteSize: 0 bytes/workgroup (compile time only)
; SGPRBlocks: 4
; VGPRBlocks: 1
; NumSGPRsForWavesPerEU: 33
; NumVGPRsForWavesPerEU: 15
; Occupancy: 16
; WaveLimiterHint : 1
; COMPUTE_PGM_RSRC2:SCRATCH_EN: 0
; COMPUTE_PGM_RSRC2:USER_SGPR: 14
; COMPUTE_PGM_RSRC2:TRAP_HANDLER: 0
; COMPUTE_PGM_RSRC2:TGID_X_EN: 1
; COMPUTE_PGM_RSRC2:TGID_Y_EN: 0
; COMPUTE_PGM_RSRC2:TGID_Z_EN: 1
; COMPUTE_PGM_RSRC2:TIDIG_COMP_CNT: 0
	.section	.text._ZL20rocblas_tpmvt_kernelILi512EPKPKfPKPfS4_EvbbiT0_llT1_lllT2_li,"axG",@progbits,_ZL20rocblas_tpmvt_kernelILi512EPKPKfPKPfS4_EvbbiT0_llT1_lllT2_li,comdat
	.globl	_ZL20rocblas_tpmvt_kernelILi512EPKPKfPKPfS4_EvbbiT0_llT1_lllT2_li ; -- Begin function _ZL20rocblas_tpmvt_kernelILi512EPKPKfPKPfS4_EvbbiT0_llT1_lllT2_li
	.p2align	8
	.type	_ZL20rocblas_tpmvt_kernelILi512EPKPKfPKPfS4_EvbbiT0_llT1_lllT2_li,@function
_ZL20rocblas_tpmvt_kernelILi512EPKPKfPKPfS4_EvbbiT0_llT1_lllT2_li: ; @_ZL20rocblas_tpmvt_kernelILi512EPKPKfPKPfS4_EvbbiT0_llT1_lllT2_li
; %bb.0:
	s_clause 0x1
	s_load_b32 s5, s[0:1], 0x64
	s_load_b64 s[2:3], s[0:1], 0x0
	s_waitcnt lgkmcnt(0)
	s_and_b32 s5, s5, 0xffff
	s_delay_alu instid0(SALU_CYCLE_1) | instskip(SKIP_1) | instid1(VALU_DEP_1)
	v_mad_u64_u32 v[1:2], null, s14, s5, v[0:1]
	s_mov_b32 s5, exec_lo
	v_cmpx_gt_i32_e64 s3, v1
	s_cbranch_execz .LBB13_18
; %bb.1:
	s_mov_b32 s4, s15
	s_clause 0x1
	s_load_b32 s5, s[0:1], 0x0
	s_load_b128 s[12:15], s[0:1], 0x8
	v_ashrrev_i32_e32 v2, 31, v1
	s_waitcnt lgkmcnt(0)
	s_and_b32 s24, s5, 1
	s_bitcmp1_b32 s2, 8
	s_mov_b32 s5, 0
	s_cselect_b32 s2, -1, 0
	s_lshl_b64 s[6:7], s[4:5], 3
	s_xor_b32 s19, s2, -1
	s_add_u32 s8, s12, s6
	s_addc_u32 s9, s13, s7
	s_load_b64 s[10:11], s[8:9], 0x0
	s_clause 0x1
	s_load_b128 s[20:23], s[0:1], 0x20
	s_load_b64 s[8:9], s[0:1], 0x30
	s_lshl_b64 s[12:13], s[14:15], 2
	s_mov_b32 s2, -1
	s_waitcnt lgkmcnt(0)
	s_add_u32 s5, s10, s12
	s_addc_u32 s18, s11, s13
	s_add_u32 s6, s20, s6
	s_addc_u32 s7, s21, s7
	v_mul_lo_u32 v0, v1, s9
	s_load_b64 s[14:15], s[6:7], 0x0
	v_mul_lo_u32 v5, v2, s8
	v_mad_u64_u32 v[3:4], null, v1, s8, 0
	s_lshl_b64 s[16:17], s[22:23], 2
	s_delay_alu instid0(VALU_DEP_1) | instskip(NEXT) | instid1(VALU_DEP_1)
	v_add3_u32 v4, v4, v0, v5
	v_lshlrev_b64 v[3:4], 2, v[3:4]
	s_waitcnt lgkmcnt(0)
	s_add_u32 s6, s14, s16
	s_addc_u32 s7, s15, s17
	s_delay_alu instid0(VALU_DEP_1) | instskip(NEXT) | instid1(VALU_DEP_2)
	v_add_co_u32 v3, vcc_lo, s6, v3
	v_add_co_ci_u32_e32 v4, vcc_lo, s7, v4, vcc_lo
	s_cmp_eq_u32 s24, 0
	global_load_b32 v0, v[3:4], off
	v_cndmask_b32_e64 v3, 0, 1, s19
	s_delay_alu instid0(VALU_DEP_1)
	v_cmp_ne_u32_e32 vcc_lo, 1, v3
	s_cbranch_scc0 .LBB13_9
; %bb.2:
	s_waitcnt vmcnt(0)
	v_mov_b32_e32 v8, v0
	s_and_b32 vcc_lo, exec_lo, vcc_lo
	s_cbranch_vccnz .LBB13_4
; %bb.3:
	v_add_co_u32 v5, vcc_lo, v1, -1
	v_add_co_ci_u32_e32 v3, vcc_lo, -1, v2, vcc_lo
	s_delay_alu instid0(VALU_DEP_2) | instskip(NEXT) | instid1(VALU_DEP_2)
	v_mul_lo_u32 v7, v5, v2
	v_mul_lo_u32 v6, v3, v1
	v_mad_u64_u32 v[3:4], null, v5, v1, 0
	s_delay_alu instid0(VALU_DEP_1) | instskip(SKIP_1) | instid1(VALU_DEP_2)
	v_add3_u32 v4, v4, v7, v6
	v_mad_i64_i32 v[5:6], null, v1, s3, 0
	v_lshrrev_b64 v[3:4], 1, v[3:4]
	s_delay_alu instid0(VALU_DEP_1) | instskip(NEXT) | instid1(VALU_DEP_2)
	v_sub_co_u32 v3, vcc_lo, v5, v3
	v_sub_co_ci_u32_e32 v4, vcc_lo, v6, v4, vcc_lo
	s_delay_alu instid0(VALU_DEP_1) | instskip(NEXT) | instid1(VALU_DEP_1)
	v_lshlrev_b64 v[3:4], 2, v[3:4]
	v_add_co_u32 v3, vcc_lo, s5, v3
	s_delay_alu instid0(VALU_DEP_2)
	v_add_co_ci_u32_e32 v4, vcc_lo, s18, v4, vcc_lo
	global_load_b32 v3, v[3:4], off
	s_waitcnt vmcnt(0)
	v_mul_f32_e32 v8, v0, v3
.LBB13_4:
	v_add_nc_u32_e32 v3, 1, v1
	s_mov_b32 s20, exec_lo
	s_delay_alu instid0(VALU_DEP_1)
	v_cmpx_gt_i32_e64 s3, v3
	s_cbranch_execz .LBB13_8
; %bb.5:
	v_add_co_u32 v4, vcc_lo, v1, -1
	v_add_co_ci_u32_e32 v5, vcc_lo, -1, v2, vcc_lo
	s_ashr_i32 s23, s3, 31
	s_delay_alu instid0(VALU_DEP_2) | instskip(SKIP_1) | instid1(VALU_DEP_2)
	v_mul_lo_u32 v9, v4, v2
	s_mov_b32 s22, s3
	v_mul_lo_u32 v7, v5, v1
	v_mad_u64_u32 v[5:6], null, v4, v1, 0
	s_add_u32 s2, s14, s16
	v_ashrrev_i32_e32 v4, 31, v3
	s_addc_u32 s21, s15, s17
	s_lshl_b64 s[16:17], s[22:23], 2
	s_lshl_b64 s[14:15], s[8:9], 2
	s_add_u32 s16, s16, -4
	s_addc_u32 s17, s17, -1
	v_mul_lo_u32 v15, s9, v3
	v_mul_lo_u32 v16, s8, v4
	v_add3_u32 v6, v6, v9, v7
	v_mad_u64_u32 v[9:10], null, s8, v3, 0
	v_mad_u64_u32 v[11:12], null, s16, v1, s[12:13]
	v_mul_lo_u32 v7, s16, v2
	v_mul_lo_u32 v17, s17, v1
	v_lshlrev_b64 v[5:6], 1, v[5:6]
	v_lshlrev_b64 v[13:14], 2, v[3:4]
	v_add3_u32 v10, v10, v16, v15
	s_delay_alu instid0(VALU_DEP_4) | instskip(NEXT) | instid1(VALU_DEP_4)
	v_add3_u32 v4, v17, v12, v7
	v_and_b32_e32 v7, -4, v5
	s_delay_alu instid0(VALU_DEP_4) | instskip(NEXT) | instid1(VALU_DEP_3)
	v_add_co_u32 v11, vcc_lo, v11, v13
	v_add_co_ci_u32_e32 v12, vcc_lo, v4, v14, vcc_lo
	v_lshlrev_b64 v[4:5], 2, v[9:10]
	s_delay_alu instid0(VALU_DEP_3) | instskip(NEXT) | instid1(VALU_DEP_3)
	v_sub_co_u32 v7, vcc_lo, v11, v7
	v_sub_co_ci_u32_e32 v9, vcc_lo, v12, v6, vcc_lo
	s_delay_alu instid0(VALU_DEP_3) | instskip(NEXT) | instid1(VALU_DEP_4)
	v_add_co_u32 v4, vcc_lo, s2, v4
	v_add_co_ci_u32_e32 v5, vcc_lo, s21, v5, vcc_lo
	s_delay_alu instid0(VALU_DEP_4) | instskip(NEXT) | instid1(VALU_DEP_4)
	v_add_co_u32 v6, vcc_lo, s10, v7
	v_add_co_ci_u32_e32 v7, vcc_lo, s11, v9, vcc_lo
	s_mov_b32 s10, 0
	.p2align	6
.LBB13_6:                               ; =>This Inner Loop Header: Depth=1
	global_load_b32 v9, v[6:7], off
	global_load_b32 v10, v[4:5], off
	v_add_nc_u32_e32 v3, 1, v3
	v_add_co_u32 v4, vcc_lo, v4, s14
	v_add_co_ci_u32_e32 v5, vcc_lo, s15, v5, vcc_lo
	v_add_co_u32 v6, vcc_lo, v6, 4
	v_add_co_ci_u32_e32 v7, vcc_lo, 0, v7, vcc_lo
	s_waitcnt vmcnt(0)
	v_fmac_f32_e32 v8, v9, v10
	v_cmp_le_i32_e64 s2, s3, v3
	s_delay_alu instid0(VALU_DEP_1) | instskip(NEXT) | instid1(SALU_CYCLE_1)
	s_or_b32 s10, s2, s10
	s_and_not1_b32 exec_lo, exec_lo, s10
	s_cbranch_execnz .LBB13_6
; %bb.7:
	s_or_b32 exec_lo, exec_lo, s10
.LBB13_8:
	s_delay_alu instid0(SALU_CYCLE_1)
	s_or_b32 exec_lo, exec_lo, s20
	s_branch .LBB13_17
.LBB13_9:
                                        ; implicit-def: $vgpr8
	s_and_b32 vcc_lo, exec_lo, s2
	s_cbranch_vccz .LBB13_17
; %bb.10:
	v_add_nc_u32_e32 v3, 1, v1
	s_and_not1_b32 vcc_lo, exec_lo, s19
	s_cbranch_vccnz .LBB13_12
; %bb.11:
	s_delay_alu instid0(VALU_DEP_1) | instskip(SKIP_1) | instid1(VALU_DEP_2)
	v_mad_i64_i32 v[4:5], null, v3, v1, 0
	v_lshlrev_b64 v[6:7], 2, v[1:2]
	v_lshlrev_b64 v[4:5], 1, v[4:5]
	s_delay_alu instid0(VALU_DEP_1) | instskip(NEXT) | instid1(VALU_DEP_1)
	v_and_b32_e32 v4, -4, v4
	v_add_co_u32 v4, vcc_lo, s5, v4
	s_delay_alu instid0(VALU_DEP_3) | instskip(NEXT) | instid1(VALU_DEP_2)
	v_add_co_ci_u32_e32 v5, vcc_lo, s18, v5, vcc_lo
	v_add_co_u32 v4, vcc_lo, v4, v6
	s_delay_alu instid0(VALU_DEP_2)
	v_add_co_ci_u32_e32 v5, vcc_lo, v5, v7, vcc_lo
	global_load_b32 v4, v[4:5], off
	s_waitcnt vmcnt(0)
	v_mul_f32_e32 v0, v0, v4
.LBB13_12:
	s_mov_b32 s10, 0
	s_mov_b32 s3, exec_lo
	v_cmpx_lt_i32_e32 0, v1
	s_cbranch_execz .LBB13_16
; %bb.13:
	v_mad_u64_u32 v[4:5], null, v3, v1, 0
	s_lshl_b64 s[8:9], s[8:9], 2
	s_delay_alu instid0(VALU_DEP_1) | instskip(NEXT) | instid1(VALU_DEP_1)
	v_mad_u64_u32 v[6:7], null, v3, v2, v[5:6]
	v_mov_b32_e32 v5, v6
	s_delay_alu instid0(VALU_DEP_1) | instskip(SKIP_1) | instid1(VALU_DEP_2)
	v_lshlrev_b64 v[3:4], 1, v[4:5]
	v_mov_b32_e32 v5, v1
	v_and_b32_e32 v3, -4, v3
	s_delay_alu instid0(VALU_DEP_1) | instskip(NEXT) | instid1(VALU_DEP_4)
	v_add_co_u32 v3, vcc_lo, s5, v3
	v_add_co_ci_u32_e32 v4, vcc_lo, s18, v4, vcc_lo
.LBB13_14:                              ; =>This Inner Loop Header: Depth=1
	global_load_b32 v6, v[3:4], off
	s_load_b32 s5, s[6:7], 0x0
	v_add_nc_u32_e32 v5, -1, v5
	v_add_co_u32 v3, vcc_lo, v3, 4
	v_add_co_ci_u32_e32 v4, vcc_lo, 0, v4, vcc_lo
	s_add_u32 s6, s6, s8
	s_addc_u32 s7, s7, s9
	s_waitcnt vmcnt(0) lgkmcnt(0)
	v_fmac_f32_e32 v0, s5, v6
	v_cmp_eq_u32_e64 s2, 0, v5
	s_delay_alu instid0(VALU_DEP_1) | instskip(NEXT) | instid1(SALU_CYCLE_1)
	s_or_b32 s10, s2, s10
	s_and_not1_b32 exec_lo, exec_lo, s10
	s_cbranch_execnz .LBB13_14
; %bb.15:
	s_or_b32 exec_lo, exec_lo, s10
.LBB13_16:
	s_delay_alu instid0(SALU_CYCLE_1)
	s_or_b32 exec_lo, exec_lo, s3
	s_waitcnt vmcnt(0)
	v_mov_b32_e32 v8, v0
.LBB13_17:
	s_load_b128 s[0:3], s[0:1], 0x40
	s_waitcnt vmcnt(0)
	v_lshlrev_b64 v[0:1], 2, v[1:2]
	s_waitcnt lgkmcnt(0)
	s_mul_i32 s3, s4, s3
	s_mul_hi_u32 s5, s4, s2
	s_mul_i32 s2, s4, s2
	s_add_i32 s3, s5, s3
	s_delay_alu instid0(SALU_CYCLE_1) | instskip(NEXT) | instid1(SALU_CYCLE_1)
	s_lshl_b64 s[2:3], s[2:3], 2
	s_add_u32 s0, s0, s2
	s_addc_u32 s1, s1, s3
	v_add_co_u32 v0, vcc_lo, s0, v0
	v_add_co_ci_u32_e32 v1, vcc_lo, s1, v1, vcc_lo
	global_store_b32 v[0:1], v8, off
.LBB13_18:
	s_nop 0
	s_sendmsg sendmsg(MSG_DEALLOC_VGPRS)
	s_endpgm
	.section	.rodata,"a",@progbits
	.p2align	6, 0x0
	.amdhsa_kernel _ZL20rocblas_tpmvt_kernelILi512EPKPKfPKPfS4_EvbbiT0_llT1_lllT2_li
		.amdhsa_group_segment_fixed_size 0
		.amdhsa_private_segment_fixed_size 0
		.amdhsa_kernarg_size 344
		.amdhsa_user_sgpr_count 14
		.amdhsa_user_sgpr_dispatch_ptr 0
		.amdhsa_user_sgpr_queue_ptr 0
		.amdhsa_user_sgpr_kernarg_segment_ptr 1
		.amdhsa_user_sgpr_dispatch_id 0
		.amdhsa_user_sgpr_private_segment_size 0
		.amdhsa_wavefront_size32 1
		.amdhsa_uses_dynamic_stack 0
		.amdhsa_enable_private_segment 0
		.amdhsa_system_sgpr_workgroup_id_x 1
		.amdhsa_system_sgpr_workgroup_id_y 0
		.amdhsa_system_sgpr_workgroup_id_z 1
		.amdhsa_system_sgpr_workgroup_info 0
		.amdhsa_system_vgpr_workitem_id 0
		.amdhsa_next_free_vgpr 18
		.amdhsa_next_free_sgpr 25
		.amdhsa_reserve_vcc 1
		.amdhsa_float_round_mode_32 0
		.amdhsa_float_round_mode_16_64 0
		.amdhsa_float_denorm_mode_32 3
		.amdhsa_float_denorm_mode_16_64 3
		.amdhsa_dx10_clamp 1
		.amdhsa_ieee_mode 1
		.amdhsa_fp16_overflow 0
		.amdhsa_workgroup_processor_mode 1
		.amdhsa_memory_ordered 1
		.amdhsa_forward_progress 0
		.amdhsa_shared_vgpr_count 0
		.amdhsa_exception_fp_ieee_invalid_op 0
		.amdhsa_exception_fp_denorm_src 0
		.amdhsa_exception_fp_ieee_div_zero 0
		.amdhsa_exception_fp_ieee_overflow 0
		.amdhsa_exception_fp_ieee_underflow 0
		.amdhsa_exception_fp_ieee_inexact 0
		.amdhsa_exception_int_div_zero 0
	.end_amdhsa_kernel
	.section	.text._ZL20rocblas_tpmvt_kernelILi512EPKPKfPKPfS4_EvbbiT0_llT1_lllT2_li,"axG",@progbits,_ZL20rocblas_tpmvt_kernelILi512EPKPKfPKPfS4_EvbbiT0_llT1_lllT2_li,comdat
.Lfunc_end13:
	.size	_ZL20rocblas_tpmvt_kernelILi512EPKPKfPKPfS4_EvbbiT0_llT1_lllT2_li, .Lfunc_end13-_ZL20rocblas_tpmvt_kernelILi512EPKPKfPKPfS4_EvbbiT0_llT1_lllT2_li
                                        ; -- End function
	.section	.AMDGPU.csdata,"",@progbits
; Kernel info:
; codeLenInByte = 1168
; NumSgprs: 27
; NumVgprs: 18
; ScratchSize: 0
; MemoryBound: 0
; FloatMode: 240
; IeeeMode: 1
; LDSByteSize: 0 bytes/workgroup (compile time only)
; SGPRBlocks: 3
; VGPRBlocks: 2
; NumSGPRsForWavesPerEU: 27
; NumVGPRsForWavesPerEU: 18
; Occupancy: 16
; WaveLimiterHint : 1
; COMPUTE_PGM_RSRC2:SCRATCH_EN: 0
; COMPUTE_PGM_RSRC2:USER_SGPR: 14
; COMPUTE_PGM_RSRC2:TRAP_HANDLER: 0
; COMPUTE_PGM_RSRC2:TGID_X_EN: 1
; COMPUTE_PGM_RSRC2:TGID_Y_EN: 0
; COMPUTE_PGM_RSRC2:TGID_Z_EN: 1
; COMPUTE_PGM_RSRC2:TIDIG_COMP_CNT: 0
	.section	.text._ZL20rocblas_tpmvc_kernelILi512EPKPKfPKPfS4_EvbbiT0_llT1_lllT2_li,"axG",@progbits,_ZL20rocblas_tpmvc_kernelILi512EPKPKfPKPfS4_EvbbiT0_llT1_lllT2_li,comdat
	.globl	_ZL20rocblas_tpmvc_kernelILi512EPKPKfPKPfS4_EvbbiT0_llT1_lllT2_li ; -- Begin function _ZL20rocblas_tpmvc_kernelILi512EPKPKfPKPfS4_EvbbiT0_llT1_lllT2_li
	.p2align	8
	.type	_ZL20rocblas_tpmvc_kernelILi512EPKPKfPKPfS4_EvbbiT0_llT1_lllT2_li,@function
_ZL20rocblas_tpmvc_kernelILi512EPKPKfPKPfS4_EvbbiT0_llT1_lllT2_li: ; @_ZL20rocblas_tpmvc_kernelILi512EPKPKfPKPfS4_EvbbiT0_llT1_lllT2_li
; %bb.0:
	s_clause 0x1
	s_load_b32 s5, s[0:1], 0x64
	s_load_b64 s[2:3], s[0:1], 0x0
	s_waitcnt lgkmcnt(0)
	s_and_b32 s5, s5, 0xffff
	s_delay_alu instid0(SALU_CYCLE_1) | instskip(SKIP_1) | instid1(VALU_DEP_1)
	v_mad_u64_u32 v[1:2], null, s14, s5, v[0:1]
	s_mov_b32 s5, exec_lo
	v_cmpx_gt_i32_e64 s3, v1
	s_cbranch_execz .LBB14_18
; %bb.1:
	s_mov_b32 s4, s15
	s_clause 0x1
	s_load_b32 s5, s[0:1], 0x0
	s_load_b128 s[12:15], s[0:1], 0x8
	v_ashrrev_i32_e32 v2, 31, v1
	s_waitcnt lgkmcnt(0)
	s_and_b32 s24, s5, 1
	s_bitcmp1_b32 s2, 8
	s_mov_b32 s5, 0
	s_cselect_b32 s2, -1, 0
	s_lshl_b64 s[6:7], s[4:5], 3
	s_xor_b32 s19, s2, -1
	s_add_u32 s8, s12, s6
	s_addc_u32 s9, s13, s7
	s_load_b64 s[10:11], s[8:9], 0x0
	s_clause 0x1
	s_load_b128 s[20:23], s[0:1], 0x20
	s_load_b64 s[8:9], s[0:1], 0x30
	s_lshl_b64 s[12:13], s[14:15], 2
	s_mov_b32 s2, -1
	s_waitcnt lgkmcnt(0)
	s_add_u32 s5, s10, s12
	s_addc_u32 s18, s11, s13
	s_add_u32 s6, s20, s6
	s_addc_u32 s7, s21, s7
	v_mul_lo_u32 v0, v1, s9
	s_load_b64 s[14:15], s[6:7], 0x0
	v_mul_lo_u32 v5, v2, s8
	v_mad_u64_u32 v[3:4], null, v1, s8, 0
	s_lshl_b64 s[16:17], s[22:23], 2
	s_delay_alu instid0(VALU_DEP_1) | instskip(NEXT) | instid1(VALU_DEP_1)
	v_add3_u32 v4, v4, v0, v5
	v_lshlrev_b64 v[3:4], 2, v[3:4]
	s_waitcnt lgkmcnt(0)
	s_add_u32 s6, s14, s16
	s_addc_u32 s7, s15, s17
	s_delay_alu instid0(VALU_DEP_1) | instskip(NEXT) | instid1(VALU_DEP_2)
	v_add_co_u32 v3, vcc_lo, s6, v3
	v_add_co_ci_u32_e32 v4, vcc_lo, s7, v4, vcc_lo
	s_cmp_eq_u32 s24, 0
	global_load_b32 v0, v[3:4], off
	v_cndmask_b32_e64 v3, 0, 1, s19
	s_delay_alu instid0(VALU_DEP_1)
	v_cmp_ne_u32_e32 vcc_lo, 1, v3
	s_cbranch_scc0 .LBB14_9
; %bb.2:
	s_waitcnt vmcnt(0)
	v_mov_b32_e32 v8, v0
	s_and_b32 vcc_lo, exec_lo, vcc_lo
	s_cbranch_vccnz .LBB14_4
; %bb.3:
	v_add_co_u32 v5, vcc_lo, v1, -1
	v_add_co_ci_u32_e32 v3, vcc_lo, -1, v2, vcc_lo
	s_delay_alu instid0(VALU_DEP_2) | instskip(NEXT) | instid1(VALU_DEP_2)
	v_mul_lo_u32 v7, v5, v2
	v_mul_lo_u32 v6, v3, v1
	v_mad_u64_u32 v[3:4], null, v5, v1, 0
	s_delay_alu instid0(VALU_DEP_1) | instskip(SKIP_1) | instid1(VALU_DEP_2)
	v_add3_u32 v4, v4, v7, v6
	v_mad_i64_i32 v[5:6], null, v1, s3, 0
	v_lshrrev_b64 v[3:4], 1, v[3:4]
	s_delay_alu instid0(VALU_DEP_1) | instskip(NEXT) | instid1(VALU_DEP_2)
	v_sub_co_u32 v3, vcc_lo, v5, v3
	v_sub_co_ci_u32_e32 v4, vcc_lo, v6, v4, vcc_lo
	s_delay_alu instid0(VALU_DEP_1) | instskip(NEXT) | instid1(VALU_DEP_1)
	v_lshlrev_b64 v[3:4], 2, v[3:4]
	v_add_co_u32 v3, vcc_lo, s5, v3
	s_delay_alu instid0(VALU_DEP_2)
	v_add_co_ci_u32_e32 v4, vcc_lo, s18, v4, vcc_lo
	global_load_b32 v3, v[3:4], off
	s_waitcnt vmcnt(0)
	v_mul_f32_e32 v8, v0, v3
.LBB14_4:
	v_add_nc_u32_e32 v3, 1, v1
	s_mov_b32 s20, exec_lo
	s_delay_alu instid0(VALU_DEP_1)
	v_cmpx_gt_i32_e64 s3, v3
	s_cbranch_execz .LBB14_8
; %bb.5:
	v_add_co_u32 v4, vcc_lo, v1, -1
	v_add_co_ci_u32_e32 v5, vcc_lo, -1, v2, vcc_lo
	s_ashr_i32 s23, s3, 31
	s_delay_alu instid0(VALU_DEP_2) | instskip(SKIP_1) | instid1(VALU_DEP_2)
	v_mul_lo_u32 v9, v4, v2
	s_mov_b32 s22, s3
	v_mul_lo_u32 v7, v5, v1
	v_mad_u64_u32 v[5:6], null, v4, v1, 0
	s_add_u32 s2, s14, s16
	v_ashrrev_i32_e32 v4, 31, v3
	s_addc_u32 s21, s15, s17
	s_lshl_b64 s[16:17], s[22:23], 2
	s_lshl_b64 s[14:15], s[8:9], 2
	s_add_u32 s16, s16, -4
	s_addc_u32 s17, s17, -1
	v_mul_lo_u32 v15, s9, v3
	v_mul_lo_u32 v16, s8, v4
	v_add3_u32 v6, v6, v9, v7
	v_mad_u64_u32 v[9:10], null, s8, v3, 0
	v_mad_u64_u32 v[11:12], null, s16, v1, s[12:13]
	v_mul_lo_u32 v7, s16, v2
	v_mul_lo_u32 v17, s17, v1
	v_lshlrev_b64 v[5:6], 1, v[5:6]
	v_lshlrev_b64 v[13:14], 2, v[3:4]
	v_add3_u32 v10, v10, v16, v15
	s_delay_alu instid0(VALU_DEP_4) | instskip(NEXT) | instid1(VALU_DEP_4)
	v_add3_u32 v4, v17, v12, v7
	v_and_b32_e32 v7, -4, v5
	s_delay_alu instid0(VALU_DEP_4) | instskip(NEXT) | instid1(VALU_DEP_3)
	v_add_co_u32 v11, vcc_lo, v11, v13
	v_add_co_ci_u32_e32 v12, vcc_lo, v4, v14, vcc_lo
	v_lshlrev_b64 v[4:5], 2, v[9:10]
	s_delay_alu instid0(VALU_DEP_3) | instskip(NEXT) | instid1(VALU_DEP_3)
	v_sub_co_u32 v7, vcc_lo, v11, v7
	v_sub_co_ci_u32_e32 v9, vcc_lo, v12, v6, vcc_lo
	s_delay_alu instid0(VALU_DEP_3) | instskip(NEXT) | instid1(VALU_DEP_4)
	v_add_co_u32 v4, vcc_lo, s2, v4
	v_add_co_ci_u32_e32 v5, vcc_lo, s21, v5, vcc_lo
	s_delay_alu instid0(VALU_DEP_4) | instskip(NEXT) | instid1(VALU_DEP_4)
	v_add_co_u32 v6, vcc_lo, s10, v7
	v_add_co_ci_u32_e32 v7, vcc_lo, s11, v9, vcc_lo
	s_mov_b32 s10, 0
	.p2align	6
.LBB14_6:                               ; =>This Inner Loop Header: Depth=1
	global_load_b32 v9, v[6:7], off
	global_load_b32 v10, v[4:5], off
	v_add_nc_u32_e32 v3, 1, v3
	v_add_co_u32 v4, vcc_lo, v4, s14
	v_add_co_ci_u32_e32 v5, vcc_lo, s15, v5, vcc_lo
	v_add_co_u32 v6, vcc_lo, v6, 4
	v_add_co_ci_u32_e32 v7, vcc_lo, 0, v7, vcc_lo
	s_waitcnt vmcnt(0)
	v_fmac_f32_e32 v8, v9, v10
	v_cmp_le_i32_e64 s2, s3, v3
	s_delay_alu instid0(VALU_DEP_1) | instskip(NEXT) | instid1(SALU_CYCLE_1)
	s_or_b32 s10, s2, s10
	s_and_not1_b32 exec_lo, exec_lo, s10
	s_cbranch_execnz .LBB14_6
; %bb.7:
	s_or_b32 exec_lo, exec_lo, s10
.LBB14_8:
	s_delay_alu instid0(SALU_CYCLE_1)
	s_or_b32 exec_lo, exec_lo, s20
	s_branch .LBB14_17
.LBB14_9:
                                        ; implicit-def: $vgpr8
	s_and_b32 vcc_lo, exec_lo, s2
	s_cbranch_vccz .LBB14_17
; %bb.10:
	v_add_nc_u32_e32 v3, 1, v1
	s_and_not1_b32 vcc_lo, exec_lo, s19
	s_cbranch_vccnz .LBB14_12
; %bb.11:
	s_delay_alu instid0(VALU_DEP_1) | instskip(SKIP_1) | instid1(VALU_DEP_2)
	v_mad_i64_i32 v[4:5], null, v3, v1, 0
	v_lshlrev_b64 v[6:7], 2, v[1:2]
	v_lshlrev_b64 v[4:5], 1, v[4:5]
	s_delay_alu instid0(VALU_DEP_1) | instskip(NEXT) | instid1(VALU_DEP_1)
	v_and_b32_e32 v4, -4, v4
	v_add_co_u32 v4, vcc_lo, s5, v4
	s_delay_alu instid0(VALU_DEP_3) | instskip(NEXT) | instid1(VALU_DEP_2)
	v_add_co_ci_u32_e32 v5, vcc_lo, s18, v5, vcc_lo
	v_add_co_u32 v4, vcc_lo, v4, v6
	s_delay_alu instid0(VALU_DEP_2)
	v_add_co_ci_u32_e32 v5, vcc_lo, v5, v7, vcc_lo
	global_load_b32 v4, v[4:5], off
	s_waitcnt vmcnt(0)
	v_mul_f32_e32 v0, v0, v4
.LBB14_12:
	s_mov_b32 s10, 0
	s_mov_b32 s3, exec_lo
	v_cmpx_lt_i32_e32 0, v1
	s_cbranch_execz .LBB14_16
; %bb.13:
	v_mad_u64_u32 v[4:5], null, v3, v1, 0
	s_lshl_b64 s[8:9], s[8:9], 2
	s_delay_alu instid0(VALU_DEP_1) | instskip(NEXT) | instid1(VALU_DEP_1)
	v_mad_u64_u32 v[6:7], null, v3, v2, v[5:6]
	v_mov_b32_e32 v5, v6
	s_delay_alu instid0(VALU_DEP_1) | instskip(SKIP_1) | instid1(VALU_DEP_2)
	v_lshlrev_b64 v[3:4], 1, v[4:5]
	v_mov_b32_e32 v5, v1
	v_and_b32_e32 v3, -4, v3
	s_delay_alu instid0(VALU_DEP_1) | instskip(NEXT) | instid1(VALU_DEP_4)
	v_add_co_u32 v3, vcc_lo, s5, v3
	v_add_co_ci_u32_e32 v4, vcc_lo, s18, v4, vcc_lo
.LBB14_14:                              ; =>This Inner Loop Header: Depth=1
	global_load_b32 v6, v[3:4], off
	s_load_b32 s5, s[6:7], 0x0
	v_add_nc_u32_e32 v5, -1, v5
	v_add_co_u32 v3, vcc_lo, v3, 4
	v_add_co_ci_u32_e32 v4, vcc_lo, 0, v4, vcc_lo
	s_add_u32 s6, s6, s8
	s_addc_u32 s7, s7, s9
	s_waitcnt vmcnt(0) lgkmcnt(0)
	v_fmac_f32_e32 v0, s5, v6
	v_cmp_eq_u32_e64 s2, 0, v5
	s_delay_alu instid0(VALU_DEP_1) | instskip(NEXT) | instid1(SALU_CYCLE_1)
	s_or_b32 s10, s2, s10
	s_and_not1_b32 exec_lo, exec_lo, s10
	s_cbranch_execnz .LBB14_14
; %bb.15:
	s_or_b32 exec_lo, exec_lo, s10
.LBB14_16:
	s_delay_alu instid0(SALU_CYCLE_1)
	s_or_b32 exec_lo, exec_lo, s3
	s_waitcnt vmcnt(0)
	v_mov_b32_e32 v8, v0
.LBB14_17:
	s_load_b128 s[0:3], s[0:1], 0x40
	s_waitcnt vmcnt(0)
	v_lshlrev_b64 v[0:1], 2, v[1:2]
	s_waitcnt lgkmcnt(0)
	s_mul_i32 s3, s4, s3
	s_mul_hi_u32 s5, s4, s2
	s_mul_i32 s2, s4, s2
	s_add_i32 s3, s5, s3
	s_delay_alu instid0(SALU_CYCLE_1) | instskip(NEXT) | instid1(SALU_CYCLE_1)
	s_lshl_b64 s[2:3], s[2:3], 2
	s_add_u32 s0, s0, s2
	s_addc_u32 s1, s1, s3
	v_add_co_u32 v0, vcc_lo, s0, v0
	v_add_co_ci_u32_e32 v1, vcc_lo, s1, v1, vcc_lo
	global_store_b32 v[0:1], v8, off
.LBB14_18:
	s_nop 0
	s_sendmsg sendmsg(MSG_DEALLOC_VGPRS)
	s_endpgm
	.section	.rodata,"a",@progbits
	.p2align	6, 0x0
	.amdhsa_kernel _ZL20rocblas_tpmvc_kernelILi512EPKPKfPKPfS4_EvbbiT0_llT1_lllT2_li
		.amdhsa_group_segment_fixed_size 0
		.amdhsa_private_segment_fixed_size 0
		.amdhsa_kernarg_size 344
		.amdhsa_user_sgpr_count 14
		.amdhsa_user_sgpr_dispatch_ptr 0
		.amdhsa_user_sgpr_queue_ptr 0
		.amdhsa_user_sgpr_kernarg_segment_ptr 1
		.amdhsa_user_sgpr_dispatch_id 0
		.amdhsa_user_sgpr_private_segment_size 0
		.amdhsa_wavefront_size32 1
		.amdhsa_uses_dynamic_stack 0
		.amdhsa_enable_private_segment 0
		.amdhsa_system_sgpr_workgroup_id_x 1
		.amdhsa_system_sgpr_workgroup_id_y 0
		.amdhsa_system_sgpr_workgroup_id_z 1
		.amdhsa_system_sgpr_workgroup_info 0
		.amdhsa_system_vgpr_workitem_id 0
		.amdhsa_next_free_vgpr 18
		.amdhsa_next_free_sgpr 25
		.amdhsa_reserve_vcc 1
		.amdhsa_float_round_mode_32 0
		.amdhsa_float_round_mode_16_64 0
		.amdhsa_float_denorm_mode_32 3
		.amdhsa_float_denorm_mode_16_64 3
		.amdhsa_dx10_clamp 1
		.amdhsa_ieee_mode 1
		.amdhsa_fp16_overflow 0
		.amdhsa_workgroup_processor_mode 1
		.amdhsa_memory_ordered 1
		.amdhsa_forward_progress 0
		.amdhsa_shared_vgpr_count 0
		.amdhsa_exception_fp_ieee_invalid_op 0
		.amdhsa_exception_fp_denorm_src 0
		.amdhsa_exception_fp_ieee_div_zero 0
		.amdhsa_exception_fp_ieee_overflow 0
		.amdhsa_exception_fp_ieee_underflow 0
		.amdhsa_exception_fp_ieee_inexact 0
		.amdhsa_exception_int_div_zero 0
	.end_amdhsa_kernel
	.section	.text._ZL20rocblas_tpmvc_kernelILi512EPKPKfPKPfS4_EvbbiT0_llT1_lllT2_li,"axG",@progbits,_ZL20rocblas_tpmvc_kernelILi512EPKPKfPKPfS4_EvbbiT0_llT1_lllT2_li,comdat
.Lfunc_end14:
	.size	_ZL20rocblas_tpmvc_kernelILi512EPKPKfPKPfS4_EvbbiT0_llT1_lllT2_li, .Lfunc_end14-_ZL20rocblas_tpmvc_kernelILi512EPKPKfPKPfS4_EvbbiT0_llT1_lllT2_li
                                        ; -- End function
	.section	.AMDGPU.csdata,"",@progbits
; Kernel info:
; codeLenInByte = 1168
; NumSgprs: 27
; NumVgprs: 18
; ScratchSize: 0
; MemoryBound: 0
; FloatMode: 240
; IeeeMode: 1
; LDSByteSize: 0 bytes/workgroup (compile time only)
; SGPRBlocks: 3
; VGPRBlocks: 2
; NumSGPRsForWavesPerEU: 27
; NumVGPRsForWavesPerEU: 18
; Occupancy: 16
; WaveLimiterHint : 1
; COMPUTE_PGM_RSRC2:SCRATCH_EN: 0
; COMPUTE_PGM_RSRC2:USER_SGPR: 14
; COMPUTE_PGM_RSRC2:TRAP_HANDLER: 0
; COMPUTE_PGM_RSRC2:TGID_X_EN: 1
; COMPUTE_PGM_RSRC2:TGID_Y_EN: 0
; COMPUTE_PGM_RSRC2:TGID_Z_EN: 1
; COMPUTE_PGM_RSRC2:TIDIG_COMP_CNT: 0
	.section	.text._ZL20rocblas_tpmvn_kernelILi512EPKPKdPKPdS4_EvbbiT0_llT1_lllT2_li,"axG",@progbits,_ZL20rocblas_tpmvn_kernelILi512EPKPKdPKPdS4_EvbbiT0_llT1_lllT2_li,comdat
	.globl	_ZL20rocblas_tpmvn_kernelILi512EPKPKdPKPdS4_EvbbiT0_llT1_lllT2_li ; -- Begin function _ZL20rocblas_tpmvn_kernelILi512EPKPKdPKPdS4_EvbbiT0_llT1_lllT2_li
	.p2align	8
	.type	_ZL20rocblas_tpmvn_kernelILi512EPKPKdPKPdS4_EvbbiT0_llT1_lllT2_li,@function
_ZL20rocblas_tpmvn_kernelILi512EPKPKdPKPdS4_EvbbiT0_llT1_lllT2_li: ; @_ZL20rocblas_tpmvn_kernelILi512EPKPKdPKPdS4_EvbbiT0_llT1_lllT2_li
; %bb.0:
	s_clause 0x1
	s_load_b32 s5, s[0:1], 0x64
	s_load_b64 s[2:3], s[0:1], 0x0
	s_waitcnt lgkmcnt(0)
	s_and_b32 s5, s5, 0xffff
	s_delay_alu instid0(SALU_CYCLE_1) | instskip(SKIP_1) | instid1(VALU_DEP_1)
	v_mad_u64_u32 v[1:2], null, s14, s5, v[0:1]
	s_mov_b32 s5, exec_lo
	v_cmpx_gt_i32_e64 s3, v1
	s_cbranch_execz .LBB15_18
; %bb.1:
	s_clause 0x1
	s_load_b32 s5, s[0:1], 0x0
	s_load_b128 s[8:11], s[0:1], 0x8
	s_mov_b32 s4, s15
	v_ashrrev_i32_e32 v2, 31, v1
	s_mov_b32 s23, -1
	s_waitcnt lgkmcnt(0)
	s_and_b32 s18, s5, 1
	s_bitcmp1_b32 s2, 8
	s_mov_b32 s5, 0
	s_cselect_b32 s2, -1, 0
	s_lshl_b64 s[12:13], s[4:5], 3
	s_xor_b32 s22, s2, -1
	s_add_u32 s6, s8, s12
	s_addc_u32 s7, s9, s13
	s_lshl_b64 s[16:17], s[10:11], 3
	s_load_b64 s[14:15], s[6:7], 0x0
	s_clause 0x1
	s_load_b128 s[24:27], s[0:1], 0x20
	s_load_b64 s[6:7], s[0:1], 0x30
	s_waitcnt lgkmcnt(0)
	s_add_u32 s2, s14, s16
	s_addc_u32 s5, s15, s17
	s_add_u32 s8, s24, s12
	s_addc_u32 s9, s25, s13
	v_mul_lo_u32 v0, v1, s7
	s_load_b64 s[8:9], s[8:9], 0x0
	v_mul_lo_u32 v5, v2, s6
	v_mad_u64_u32 v[3:4], null, v1, s6, 0
	s_lshl_b64 s[10:11], s[26:27], 3
	s_delay_alu instid0(VALU_DEP_1) | instskip(SKIP_1) | instid1(VALU_DEP_2)
	v_add3_u32 v4, v4, v0, v5
	v_cndmask_b32_e64 v0, 0, 1, s22
	v_lshlrev_b64 v[3:4], 3, v[3:4]
	s_waitcnt lgkmcnt(0)
	s_add_u32 s12, s8, s10
	s_addc_u32 s13, s9, s11
	s_delay_alu instid0(VALU_DEP_1) | instskip(NEXT) | instid1(VALU_DEP_2)
	v_add_co_u32 v3, vcc_lo, s12, v3
	v_add_co_ci_u32_e32 v4, vcc_lo, s13, v4, vcc_lo
	v_cmp_ne_u32_e32 vcc_lo, 1, v0
	s_cmp_eq_u32 s18, 0
	global_load_b64 v[3:4], v[3:4], off
	s_cbranch_scc0 .LBB15_9
; %bb.2:
	s_waitcnt vmcnt(0)
	v_dual_mov_b32 v6, v4 :: v_dual_mov_b32 v5, v3
	s_and_b32 vcc_lo, exec_lo, vcc_lo
	s_cbranch_vccnz .LBB15_4
; %bb.3:
	v_add_co_u32 v0, vcc_lo, v1, -1
	v_add_co_ci_u32_e32 v5, vcc_lo, -1, v2, vcc_lo
	s_delay_alu instid0(VALU_DEP_2) | instskip(NEXT) | instid1(VALU_DEP_2)
	v_mul_lo_u32 v8, v0, v2
	v_mul_lo_u32 v7, v5, v1
	v_mad_u64_u32 v[5:6], null, v0, v1, 0
	s_delay_alu instid0(VALU_DEP_1) | instskip(SKIP_1) | instid1(VALU_DEP_2)
	v_add3_u32 v6, v6, v8, v7
	v_mad_i64_i32 v[7:8], null, v1, s3, 0
	v_lshrrev_b64 v[5:6], 1, v[5:6]
	s_delay_alu instid0(VALU_DEP_1) | instskip(NEXT) | instid1(VALU_DEP_2)
	v_sub_co_u32 v5, vcc_lo, v7, v5
	v_sub_co_ci_u32_e32 v6, vcc_lo, v8, v6, vcc_lo
	s_delay_alu instid0(VALU_DEP_1) | instskip(NEXT) | instid1(VALU_DEP_1)
	v_lshlrev_b64 v[5:6], 3, v[5:6]
	v_add_co_u32 v5, vcc_lo, s2, v5
	s_delay_alu instid0(VALU_DEP_2)
	v_add_co_ci_u32_e32 v6, vcc_lo, s5, v6, vcc_lo
	global_load_b64 v[5:6], v[5:6], off
	s_waitcnt vmcnt(0)
	v_mul_f64 v[5:6], v[3:4], v[5:6]
.LBB15_4:
	s_mov_b32 s23, 0
	s_mov_b32 s24, exec_lo
	v_cmpx_lt_i32_e32 0, v1
	s_cbranch_execz .LBB15_8
; %bb.5:
	v_lshlrev_b64 v[7:8], 3, v[1:2]
	s_ashr_i32 s19, s3, 31
	s_add_u32 s16, s14, s16
	s_mov_b32 s18, s3
	s_addc_u32 s17, s15, s17
	s_lshl_b64 s[14:15], s[18:19], 3
	v_add_co_u32 v0, vcc_lo, s16, v7
	v_add_co_ci_u32_e32 v7, vcc_lo, s17, v8, vcc_lo
	s_add_u32 s25, s14, -8
	s_addc_u32 s26, s15, -1
	s_lshl_b64 s[14:15], s[6:7], 3
	s_mov_b64 s[16:17], 0
	s_mov_b32 s27, 0
	s_mov_b64 s[20:21], 0
	s_mov_b64 s[18:19], 0
	.p2align	6
.LBB15_6:                               ; =>This Inner Loop Header: Depth=1
	s_lshl_b64 s[28:29], s[16:17], 2
	s_delay_alu instid0(SALU_CYCLE_1)
	s_and_b32 s28, s28, -8
	s_add_u32 s18, s18, 1
	v_sub_co_u32 v8, vcc_lo, v0, s28
	v_subrev_co_ci_u32_e32 v9, vcc_lo, s29, v7, vcc_lo
	s_load_b64 s[28:29], s[12:13], 0x0
	v_add_co_u32 v0, vcc_lo, v0, s25
	global_load_b64 v[8:9], v[8:9], off
	s_addc_u32 s19, s19, 0
	v_add_co_ci_u32_e32 v7, vcc_lo, s26, v7, vcc_lo
	v_cmp_eq_u32_e32 vcc_lo, s18, v1
	s_waitcnt vmcnt(0) lgkmcnt(0)
	v_fma_f64 v[5:6], v[8:9], s[28:29], v[5:6]
	s_add_u32 s28, s20, 2
	s_addc_u32 s29, s21, 0
	s_add_u32 s16, s16, s20
	s_addc_u32 s17, s17, s21
	;; [unrolled: 2-line block ×3, first 2 shown]
	s_or_b32 s27, vcc_lo, s27
	s_mov_b64 s[20:21], s[28:29]
	s_and_not1_b32 exec_lo, exec_lo, s27
	s_cbranch_execnz .LBB15_6
; %bb.7:
	s_or_b32 exec_lo, exec_lo, s27
.LBB15_8:
	s_delay_alu instid0(SALU_CYCLE_1) | instskip(NEXT) | instid1(SALU_CYCLE_1)
	s_or_b32 exec_lo, exec_lo, s24
	s_and_b32 vcc_lo, exec_lo, s23
	s_cbranch_vccnz .LBB15_10
	s_branch .LBB15_17
.LBB15_9:
                                        ; implicit-def: $vgpr5_vgpr6
	s_and_b32 vcc_lo, exec_lo, s23
	s_cbranch_vccz .LBB15_17
.LBB15_10:
	v_add_nc_u32_e32 v5, 1, v1
	s_and_not1_b32 vcc_lo, exec_lo, s22
	s_cbranch_vccnz .LBB15_12
; %bb.11:
	s_delay_alu instid0(VALU_DEP_1) | instskip(SKIP_1) | instid1(VALU_DEP_2)
	v_mad_i64_i32 v[6:7], null, v5, v1, 0
	v_lshlrev_b64 v[8:9], 3, v[1:2]
	v_lshlrev_b64 v[6:7], 2, v[6:7]
	s_delay_alu instid0(VALU_DEP_1) | instskip(NEXT) | instid1(VALU_DEP_1)
	v_and_b32_e32 v0, -8, v6
	v_add_co_u32 v0, vcc_lo, s2, v0
	s_delay_alu instid0(VALU_DEP_3) | instskip(NEXT) | instid1(VALU_DEP_2)
	v_add_co_ci_u32_e32 v7, vcc_lo, s5, v7, vcc_lo
	v_add_co_u32 v6, vcc_lo, v0, v8
	s_delay_alu instid0(VALU_DEP_2)
	v_add_co_ci_u32_e32 v7, vcc_lo, v7, v9, vcc_lo
	global_load_b64 v[6:7], v[6:7], off
	s_waitcnt vmcnt(0)
	v_mul_f64 v[3:4], v[3:4], v[6:7]
.LBB15_12:
	s_mov_b32 s12, exec_lo
	s_delay_alu instid0(VALU_DEP_1)
	v_cmpx_gt_i32_e64 s3, v5
	s_cbranch_execz .LBB15_16
; %bb.13:
	v_ashrrev_i32_e32 v6, 31, v5
	v_mul_lo_u32 v9, s7, v5
	v_mad_u64_u32 v[7:8], null, s6, v5, 0
	v_add_nc_u32_e32 v0, 2, v1
	s_delay_alu instid0(VALU_DEP_4) | instskip(SKIP_3) | instid1(VALU_DEP_1)
	v_mul_lo_u32 v10, s6, v6
	s_add_u32 s8, s8, s10
	s_addc_u32 s9, s9, s11
	s_lshl_b64 s[6:7], s[6:7], 3
	v_add3_u32 v8, v8, v10, v9
	v_lshlrev_b64 v[10:11], 3, v[1:2]
	v_ashrrev_i32_e32 v9, 31, v0
	s_delay_alu instid0(VALU_DEP_3) | instskip(NEXT) | instid1(VALU_DEP_3)
	v_lshlrev_b64 v[7:8], 3, v[7:8]
	v_add_co_u32 v10, vcc_lo, s2, v10
	s_delay_alu instid0(VALU_DEP_4) | instskip(NEXT) | instid1(VALU_DEP_3)
	v_add_co_ci_u32_e32 v11, vcc_lo, s5, v11, vcc_lo
	v_add_co_u32 v7, vcc_lo, s8, v7
	s_delay_alu instid0(VALU_DEP_4)
	v_add_co_ci_u32_e32 v8, vcc_lo, s9, v8, vcc_lo
	s_mov_b32 s5, 0
	s_set_inst_prefetch_distance 0x1
	.p2align	6
.LBB15_14:                              ; =>This Inner Loop Header: Depth=1
	v_mul_lo_u32 v14, v9, v5
	v_mul_lo_u32 v15, v0, v6
	v_mad_u64_u32 v[12:13], null, v0, v5, 0
	s_delay_alu instid0(VALU_DEP_1) | instskip(NEXT) | instid1(VALU_DEP_1)
	v_add3_u32 v13, v13, v15, v14
	v_lshlrev_b64 v[12:13], 2, v[12:13]
	s_delay_alu instid0(VALU_DEP_1) | instskip(NEXT) | instid1(VALU_DEP_1)
	v_and_b32_e32 v12, -8, v12
	v_add_co_u32 v12, vcc_lo, v10, v12
	s_delay_alu instid0(VALU_DEP_3)
	v_add_co_ci_u32_e32 v13, vcc_lo, v11, v13, vcc_lo
	global_load_b64 v[14:15], v[7:8], off
	global_load_b64 v[12:13], v[12:13], off
	v_add_co_u32 v5, vcc_lo, v5, 1
	v_add_co_ci_u32_e32 v6, vcc_lo, 0, v6, vcc_lo
	v_add_co_u32 v0, vcc_lo, v0, 1
	v_add_co_ci_u32_e32 v9, vcc_lo, 0, v9, vcc_lo
	v_add_co_u32 v7, vcc_lo, v7, s6
	v_cmp_le_i32_e64 s2, s3, v5
	v_add_co_ci_u32_e32 v8, vcc_lo, s7, v8, vcc_lo
	s_delay_alu instid0(VALU_DEP_2)
	s_or_b32 s5, s2, s5
	s_waitcnt vmcnt(0)
	v_fma_f64 v[3:4], v[12:13], v[14:15], v[3:4]
	s_and_not1_b32 exec_lo, exec_lo, s5
	s_cbranch_execnz .LBB15_14
; %bb.15:
	s_set_inst_prefetch_distance 0x2
	s_or_b32 exec_lo, exec_lo, s5
.LBB15_16:
	s_delay_alu instid0(SALU_CYCLE_1) | instskip(SKIP_1) | instid1(VALU_DEP_1)
	s_or_b32 exec_lo, exec_lo, s12
	s_waitcnt vmcnt(0)
	v_dual_mov_b32 v6, v4 :: v_dual_mov_b32 v5, v3
.LBB15_17:
	s_load_b128 s[0:3], s[0:1], 0x40
	v_lshlrev_b64 v[0:1], 3, v[1:2]
	s_waitcnt lgkmcnt(0)
	s_mul_i32 s3, s4, s3
	s_mul_hi_u32 s5, s4, s2
	s_mul_i32 s2, s4, s2
	s_add_i32 s3, s5, s3
	s_delay_alu instid0(SALU_CYCLE_1) | instskip(NEXT) | instid1(SALU_CYCLE_1)
	s_lshl_b64 s[2:3], s[2:3], 3
	s_add_u32 s0, s0, s2
	s_addc_u32 s1, s1, s3
	v_add_co_u32 v0, vcc_lo, s0, v0
	v_add_co_ci_u32_e32 v1, vcc_lo, s1, v1, vcc_lo
	global_store_b64 v[0:1], v[5:6], off
.LBB15_18:
	s_nop 0
	s_sendmsg sendmsg(MSG_DEALLOC_VGPRS)
	s_endpgm
	.section	.rodata,"a",@progbits
	.p2align	6, 0x0
	.amdhsa_kernel _ZL20rocblas_tpmvn_kernelILi512EPKPKdPKPdS4_EvbbiT0_llT1_lllT2_li
		.amdhsa_group_segment_fixed_size 0
		.amdhsa_private_segment_fixed_size 0
		.amdhsa_kernarg_size 344
		.amdhsa_user_sgpr_count 14
		.amdhsa_user_sgpr_dispatch_ptr 0
		.amdhsa_user_sgpr_queue_ptr 0
		.amdhsa_user_sgpr_kernarg_segment_ptr 1
		.amdhsa_user_sgpr_dispatch_id 0
		.amdhsa_user_sgpr_private_segment_size 0
		.amdhsa_wavefront_size32 1
		.amdhsa_uses_dynamic_stack 0
		.amdhsa_enable_private_segment 0
		.amdhsa_system_sgpr_workgroup_id_x 1
		.amdhsa_system_sgpr_workgroup_id_y 0
		.amdhsa_system_sgpr_workgroup_id_z 1
		.amdhsa_system_sgpr_workgroup_info 0
		.amdhsa_system_vgpr_workitem_id 0
		.amdhsa_next_free_vgpr 16
		.amdhsa_next_free_sgpr 30
		.amdhsa_reserve_vcc 1
		.amdhsa_float_round_mode_32 0
		.amdhsa_float_round_mode_16_64 0
		.amdhsa_float_denorm_mode_32 3
		.amdhsa_float_denorm_mode_16_64 3
		.amdhsa_dx10_clamp 1
		.amdhsa_ieee_mode 1
		.amdhsa_fp16_overflow 0
		.amdhsa_workgroup_processor_mode 1
		.amdhsa_memory_ordered 1
		.amdhsa_forward_progress 0
		.amdhsa_shared_vgpr_count 0
		.amdhsa_exception_fp_ieee_invalid_op 0
		.amdhsa_exception_fp_denorm_src 0
		.amdhsa_exception_fp_ieee_div_zero 0
		.amdhsa_exception_fp_ieee_overflow 0
		.amdhsa_exception_fp_ieee_underflow 0
		.amdhsa_exception_fp_ieee_inexact 0
		.amdhsa_exception_int_div_zero 0
	.end_amdhsa_kernel
	.section	.text._ZL20rocblas_tpmvn_kernelILi512EPKPKdPKPdS4_EvbbiT0_llT1_lllT2_li,"axG",@progbits,_ZL20rocblas_tpmvn_kernelILi512EPKPKdPKPdS4_EvbbiT0_llT1_lllT2_li,comdat
.Lfunc_end15:
	.size	_ZL20rocblas_tpmvn_kernelILi512EPKPKdPKPdS4_EvbbiT0_llT1_lllT2_li, .Lfunc_end15-_ZL20rocblas_tpmvn_kernelILi512EPKPKdPKPdS4_EvbbiT0_llT1_lllT2_li
                                        ; -- End function
	.section	.AMDGPU.csdata,"",@progbits
; Kernel info:
; codeLenInByte = 1184
; NumSgprs: 32
; NumVgprs: 16
; ScratchSize: 0
; MemoryBound: 0
; FloatMode: 240
; IeeeMode: 1
; LDSByteSize: 0 bytes/workgroup (compile time only)
; SGPRBlocks: 3
; VGPRBlocks: 1
; NumSGPRsForWavesPerEU: 32
; NumVGPRsForWavesPerEU: 16
; Occupancy: 16
; WaveLimiterHint : 1
; COMPUTE_PGM_RSRC2:SCRATCH_EN: 0
; COMPUTE_PGM_RSRC2:USER_SGPR: 14
; COMPUTE_PGM_RSRC2:TRAP_HANDLER: 0
; COMPUTE_PGM_RSRC2:TGID_X_EN: 1
; COMPUTE_PGM_RSRC2:TGID_Y_EN: 0
; COMPUTE_PGM_RSRC2:TGID_Z_EN: 1
; COMPUTE_PGM_RSRC2:TIDIG_COMP_CNT: 0
	.section	.text._ZL20rocblas_tpmvt_kernelILi512EPKPKdPKPdS4_EvbbiT0_llT1_lllT2_li,"axG",@progbits,_ZL20rocblas_tpmvt_kernelILi512EPKPKdPKPdS4_EvbbiT0_llT1_lllT2_li,comdat
	.globl	_ZL20rocblas_tpmvt_kernelILi512EPKPKdPKPdS4_EvbbiT0_llT1_lllT2_li ; -- Begin function _ZL20rocblas_tpmvt_kernelILi512EPKPKdPKPdS4_EvbbiT0_llT1_lllT2_li
	.p2align	8
	.type	_ZL20rocblas_tpmvt_kernelILi512EPKPKdPKPdS4_EvbbiT0_llT1_lllT2_li,@function
_ZL20rocblas_tpmvt_kernelILi512EPKPKdPKPdS4_EvbbiT0_llT1_lllT2_li: ; @_ZL20rocblas_tpmvt_kernelILi512EPKPKdPKPdS4_EvbbiT0_llT1_lllT2_li
; %bb.0:
	s_clause 0x1
	s_load_b32 s5, s[0:1], 0x64
	s_load_b64 s[2:3], s[0:1], 0x0
	s_waitcnt lgkmcnt(0)
	s_and_b32 s5, s5, 0xffff
	s_delay_alu instid0(SALU_CYCLE_1) | instskip(SKIP_1) | instid1(VALU_DEP_1)
	v_mad_u64_u32 v[1:2], null, s14, s5, v[0:1]
	s_mov_b32 s5, exec_lo
	v_cmpx_gt_i32_e64 s3, v1
	s_cbranch_execz .LBB16_18
; %bb.1:
	s_mov_b32 s4, s15
	s_clause 0x1
	s_load_b32 s5, s[0:1], 0x0
	s_load_b128 s[12:15], s[0:1], 0x8
	v_ashrrev_i32_e32 v2, 31, v1
	s_waitcnt lgkmcnt(0)
	s_and_b32 s24, s5, 1
	s_bitcmp1_b32 s2, 8
	s_mov_b32 s5, 0
	s_cselect_b32 s2, -1, 0
	s_lshl_b64 s[6:7], s[4:5], 3
	s_xor_b32 s19, s2, -1
	s_add_u32 s8, s12, s6
	s_addc_u32 s9, s13, s7
	s_load_b64 s[10:11], s[8:9], 0x0
	s_clause 0x1
	s_load_b128 s[20:23], s[0:1], 0x20
	s_load_b64 s[8:9], s[0:1], 0x30
	s_lshl_b64 s[12:13], s[14:15], 3
	s_mov_b32 s2, -1
	s_waitcnt lgkmcnt(0)
	s_add_u32 s5, s10, s12
	s_addc_u32 s18, s11, s13
	s_add_u32 s6, s20, s6
	s_addc_u32 s7, s21, s7
	v_mul_lo_u32 v0, v1, s9
	s_load_b64 s[14:15], s[6:7], 0x0
	v_mul_lo_u32 v5, v2, s8
	v_mad_u64_u32 v[3:4], null, v1, s8, 0
	s_lshl_b64 s[16:17], s[22:23], 3
	s_delay_alu instid0(VALU_DEP_1) | instskip(SKIP_1) | instid1(VALU_DEP_2)
	v_add3_u32 v4, v4, v0, v5
	v_cndmask_b32_e64 v0, 0, 1, s19
	v_lshlrev_b64 v[3:4], 3, v[3:4]
	s_waitcnt lgkmcnt(0)
	s_add_u32 s6, s14, s16
	s_addc_u32 s7, s15, s17
	s_delay_alu instid0(VALU_DEP_1) | instskip(NEXT) | instid1(VALU_DEP_2)
	v_add_co_u32 v3, vcc_lo, s6, v3
	v_add_co_ci_u32_e32 v4, vcc_lo, s7, v4, vcc_lo
	v_cmp_ne_u32_e32 vcc_lo, 1, v0
	s_cmp_eq_u32 s24, 0
	global_load_b64 v[3:4], v[3:4], off
	s_cbranch_scc0 .LBB16_9
; %bb.2:
	s_waitcnt vmcnt(0)
	v_dual_mov_b32 v6, v4 :: v_dual_mov_b32 v5, v3
	s_and_b32 vcc_lo, exec_lo, vcc_lo
	s_cbranch_vccnz .LBB16_4
; %bb.3:
	v_add_co_u32 v0, vcc_lo, v1, -1
	v_add_co_ci_u32_e32 v5, vcc_lo, -1, v2, vcc_lo
	s_delay_alu instid0(VALU_DEP_2) | instskip(NEXT) | instid1(VALU_DEP_2)
	v_mul_lo_u32 v8, v0, v2
	v_mul_lo_u32 v7, v5, v1
	v_mad_u64_u32 v[5:6], null, v0, v1, 0
	s_delay_alu instid0(VALU_DEP_1) | instskip(SKIP_1) | instid1(VALU_DEP_2)
	v_add3_u32 v6, v6, v8, v7
	v_mad_i64_i32 v[7:8], null, v1, s3, 0
	v_lshrrev_b64 v[5:6], 1, v[5:6]
	s_delay_alu instid0(VALU_DEP_1) | instskip(NEXT) | instid1(VALU_DEP_2)
	v_sub_co_u32 v5, vcc_lo, v7, v5
	v_sub_co_ci_u32_e32 v6, vcc_lo, v8, v6, vcc_lo
	s_delay_alu instid0(VALU_DEP_1) | instskip(NEXT) | instid1(VALU_DEP_1)
	v_lshlrev_b64 v[5:6], 3, v[5:6]
	v_add_co_u32 v5, vcc_lo, s5, v5
	s_delay_alu instid0(VALU_DEP_2)
	v_add_co_ci_u32_e32 v6, vcc_lo, s18, v6, vcc_lo
	global_load_b64 v[5:6], v[5:6], off
	s_waitcnt vmcnt(0)
	v_mul_f64 v[5:6], v[3:4], v[5:6]
.LBB16_4:
	v_add_nc_u32_e32 v7, 1, v1
	s_mov_b32 s20, exec_lo
	s_delay_alu instid0(VALU_DEP_1)
	v_cmpx_gt_i32_e64 s3, v7
	s_cbranch_execz .LBB16_8
; %bb.5:
	v_add_co_u32 v0, vcc_lo, v1, -1
	v_add_co_ci_u32_e32 v8, vcc_lo, -1, v2, vcc_lo
	s_ashr_i32 s23, s3, 31
	s_delay_alu instid0(VALU_DEP_2) | instskip(SKIP_1) | instid1(VALU_DEP_3)
	v_mul_lo_u32 v12, v0, v2
	v_mad_u64_u32 v[9:10], null, v0, v1, 0
	v_mul_lo_u32 v11, v8, v1
	s_mov_b32 s22, s3
	s_add_u32 s2, s14, s16
	v_ashrrev_i32_e32 v8, 31, v7
	s_addc_u32 s21, s15, s17
	s_lshl_b64 s[16:17], s[22:23], 3
	s_lshl_b64 s[14:15], s[8:9], 3
	s_add_u32 s16, s16, -8
	s_addc_u32 s17, s17, -1
	v_mul_lo_u32 v0, s9, v7
	v_mul_lo_u32 v17, s8, v8
	v_add3_u32 v10, v10, v12, v11
	v_mad_u64_u32 v[11:12], null, s8, v7, 0
	v_mad_u64_u32 v[13:14], null, s16, v1, s[12:13]
	v_mul_lo_u32 v18, s16, v2
	v_mul_lo_u32 v19, s17, v1
	v_lshlrev_b64 v[9:10], 2, v[9:10]
	v_lshlrev_b64 v[15:16], 3, v[7:8]
	v_add3_u32 v12, v12, v17, v0
	s_delay_alu instid0(VALU_DEP_4) | instskip(NEXT) | instid1(VALU_DEP_4)
	v_add3_u32 v0, v19, v14, v18
	v_and_b32_e32 v14, -8, v9
	s_delay_alu instid0(VALU_DEP_4) | instskip(NEXT) | instid1(VALU_DEP_4)
	v_add_co_u32 v13, vcc_lo, v13, v15
	v_lshlrev_b64 v[8:9], 3, v[11:12]
	s_delay_alu instid0(VALU_DEP_4) | instskip(NEXT) | instid1(VALU_DEP_3)
	v_add_co_ci_u32_e32 v0, vcc_lo, v0, v16, vcc_lo
	v_sub_co_u32 v11, vcc_lo, v13, v14
	s_delay_alu instid0(VALU_DEP_2) | instskip(NEXT) | instid1(VALU_DEP_4)
	v_sub_co_ci_u32_e32 v0, vcc_lo, v0, v10, vcc_lo
	v_add_co_u32 v8, vcc_lo, s2, v8
	v_add_co_ci_u32_e32 v9, vcc_lo, s21, v9, vcc_lo
	s_delay_alu instid0(VALU_DEP_4) | instskip(NEXT) | instid1(VALU_DEP_4)
	v_add_co_u32 v10, vcc_lo, s10, v11
	v_add_co_ci_u32_e32 v11, vcc_lo, s11, v0, vcc_lo
	s_mov_b32 s10, 0
	.p2align	6
.LBB16_6:                               ; =>This Inner Loop Header: Depth=1
	global_load_b64 v[12:13], v[10:11], off
	global_load_b64 v[14:15], v[8:9], off
	v_add_nc_u32_e32 v7, 1, v7
	v_add_co_u32 v8, vcc_lo, v8, s14
	v_add_co_ci_u32_e32 v9, vcc_lo, s15, v9, vcc_lo
	s_delay_alu instid0(VALU_DEP_3) | instskip(SKIP_1) | instid1(VALU_DEP_1)
	v_cmp_le_i32_e32 vcc_lo, s3, v7
	v_add_co_u32 v10, s2, v10, 8
	v_add_co_ci_u32_e64 v11, s2, 0, v11, s2
	s_or_b32 s10, vcc_lo, s10
	s_waitcnt vmcnt(0)
	v_fma_f64 v[5:6], v[12:13], v[14:15], v[5:6]
	s_and_not1_b32 exec_lo, exec_lo, s10
	s_cbranch_execnz .LBB16_6
; %bb.7:
	s_or_b32 exec_lo, exec_lo, s10
.LBB16_8:
	s_delay_alu instid0(SALU_CYCLE_1)
	s_or_b32 exec_lo, exec_lo, s20
	s_branch .LBB16_17
.LBB16_9:
                                        ; implicit-def: $vgpr5_vgpr6
	s_and_b32 vcc_lo, exec_lo, s2
	s_cbranch_vccz .LBB16_17
; %bb.10:
	v_add_nc_u32_e32 v0, 1, v1
	s_and_not1_b32 vcc_lo, exec_lo, s19
	s_cbranch_vccnz .LBB16_12
; %bb.11:
	s_delay_alu instid0(VALU_DEP_1) | instskip(SKIP_1) | instid1(VALU_DEP_2)
	v_mad_i64_i32 v[5:6], null, v0, v1, 0
	v_lshlrev_b64 v[7:8], 3, v[1:2]
	v_lshlrev_b64 v[5:6], 2, v[5:6]
	s_delay_alu instid0(VALU_DEP_1) | instskip(NEXT) | instid1(VALU_DEP_1)
	v_and_b32_e32 v5, -8, v5
	v_add_co_u32 v5, vcc_lo, s5, v5
	s_delay_alu instid0(VALU_DEP_3) | instskip(NEXT) | instid1(VALU_DEP_2)
	v_add_co_ci_u32_e32 v6, vcc_lo, s18, v6, vcc_lo
	v_add_co_u32 v5, vcc_lo, v5, v7
	s_delay_alu instid0(VALU_DEP_2)
	v_add_co_ci_u32_e32 v6, vcc_lo, v6, v8, vcc_lo
	global_load_b64 v[5:6], v[5:6], off
	s_waitcnt vmcnt(0)
	v_mul_f64 v[3:4], v[3:4], v[5:6]
.LBB16_12:
	s_mov_b32 s10, 0
	s_mov_b32 s3, exec_lo
	v_cmpx_lt_i32_e32 0, v1
	s_cbranch_execz .LBB16_16
; %bb.13:
	v_mad_u64_u32 v[5:6], null, v0, v1, 0
	s_lshl_b64 s[8:9], s[8:9], 3
	s_delay_alu instid0(VALU_DEP_1) | instskip(NEXT) | instid1(VALU_DEP_1)
	v_mad_u64_u32 v[7:8], null, v0, v2, v[6:7]
	v_mov_b32_e32 v6, v7
	s_delay_alu instid0(VALU_DEP_1) | instskip(NEXT) | instid1(VALU_DEP_1)
	v_lshlrev_b64 v[5:6], 2, v[5:6]
	v_and_b32_e32 v0, -8, v5
	s_delay_alu instid0(VALU_DEP_1) | instskip(NEXT) | instid1(VALU_DEP_3)
	v_add_co_u32 v5, vcc_lo, s5, v0
	v_add_co_ci_u32_e32 v6, vcc_lo, s18, v6, vcc_lo
	v_mov_b32_e32 v0, v1
	.p2align	6
.LBB16_14:                              ; =>This Inner Loop Header: Depth=1
	global_load_b64 v[7:8], v[5:6], off
	s_load_b64 s[12:13], s[6:7], 0x0
	v_add_nc_u32_e32 v0, -1, v0
	v_add_co_u32 v5, vcc_lo, v5, 8
	v_add_co_ci_u32_e32 v6, vcc_lo, 0, v6, vcc_lo
	s_delay_alu instid0(VALU_DEP_3) | instskip(SKIP_2) | instid1(VALU_DEP_1)
	v_cmp_eq_u32_e64 s2, 0, v0
	s_add_u32 s6, s6, s8
	s_addc_u32 s7, s7, s9
	s_or_b32 s10, s2, s10
	s_waitcnt vmcnt(0) lgkmcnt(0)
	v_fma_f64 v[3:4], v[7:8], s[12:13], v[3:4]
	s_and_not1_b32 exec_lo, exec_lo, s10
	s_cbranch_execnz .LBB16_14
; %bb.15:
	s_or_b32 exec_lo, exec_lo, s10
.LBB16_16:
	s_delay_alu instid0(SALU_CYCLE_1) | instskip(SKIP_1) | instid1(VALU_DEP_1)
	s_or_b32 exec_lo, exec_lo, s3
	s_waitcnt vmcnt(0)
	v_dual_mov_b32 v6, v4 :: v_dual_mov_b32 v5, v3
.LBB16_17:
	s_load_b128 s[0:3], s[0:1], 0x40
	v_lshlrev_b64 v[0:1], 3, v[1:2]
	s_waitcnt lgkmcnt(0)
	s_mul_i32 s3, s4, s3
	s_mul_hi_u32 s5, s4, s2
	s_mul_i32 s2, s4, s2
	s_add_i32 s3, s5, s3
	s_delay_alu instid0(SALU_CYCLE_1) | instskip(NEXT) | instid1(SALU_CYCLE_1)
	s_lshl_b64 s[2:3], s[2:3], 3
	s_add_u32 s0, s0, s2
	s_addc_u32 s1, s1, s3
	v_add_co_u32 v0, vcc_lo, s0, v0
	v_add_co_ci_u32_e32 v1, vcc_lo, s1, v1, vcc_lo
	global_store_b64 v[0:1], v[5:6], off
.LBB16_18:
	s_nop 0
	s_sendmsg sendmsg(MSG_DEALLOC_VGPRS)
	s_endpgm
	.section	.rodata,"a",@progbits
	.p2align	6, 0x0
	.amdhsa_kernel _ZL20rocblas_tpmvt_kernelILi512EPKPKdPKPdS4_EvbbiT0_llT1_lllT2_li
		.amdhsa_group_segment_fixed_size 0
		.amdhsa_private_segment_fixed_size 0
		.amdhsa_kernarg_size 344
		.amdhsa_user_sgpr_count 14
		.amdhsa_user_sgpr_dispatch_ptr 0
		.amdhsa_user_sgpr_queue_ptr 0
		.amdhsa_user_sgpr_kernarg_segment_ptr 1
		.amdhsa_user_sgpr_dispatch_id 0
		.amdhsa_user_sgpr_private_segment_size 0
		.amdhsa_wavefront_size32 1
		.amdhsa_uses_dynamic_stack 0
		.amdhsa_enable_private_segment 0
		.amdhsa_system_sgpr_workgroup_id_x 1
		.amdhsa_system_sgpr_workgroup_id_y 0
		.amdhsa_system_sgpr_workgroup_id_z 1
		.amdhsa_system_sgpr_workgroup_info 0
		.amdhsa_system_vgpr_workitem_id 0
		.amdhsa_next_free_vgpr 20
		.amdhsa_next_free_sgpr 25
		.amdhsa_reserve_vcc 1
		.amdhsa_float_round_mode_32 0
		.amdhsa_float_round_mode_16_64 0
		.amdhsa_float_denorm_mode_32 3
		.amdhsa_float_denorm_mode_16_64 3
		.amdhsa_dx10_clamp 1
		.amdhsa_ieee_mode 1
		.amdhsa_fp16_overflow 0
		.amdhsa_workgroup_processor_mode 1
		.amdhsa_memory_ordered 1
		.amdhsa_forward_progress 0
		.amdhsa_shared_vgpr_count 0
		.amdhsa_exception_fp_ieee_invalid_op 0
		.amdhsa_exception_fp_denorm_src 0
		.amdhsa_exception_fp_ieee_div_zero 0
		.amdhsa_exception_fp_ieee_overflow 0
		.amdhsa_exception_fp_ieee_underflow 0
		.amdhsa_exception_fp_ieee_inexact 0
		.amdhsa_exception_int_div_zero 0
	.end_amdhsa_kernel
	.section	.text._ZL20rocblas_tpmvt_kernelILi512EPKPKdPKPdS4_EvbbiT0_llT1_lllT2_li,"axG",@progbits,_ZL20rocblas_tpmvt_kernelILi512EPKPKdPKPdS4_EvbbiT0_llT1_lllT2_li,comdat
.Lfunc_end16:
	.size	_ZL20rocblas_tpmvt_kernelILi512EPKPKdPKPdS4_EvbbiT0_llT1_lllT2_li, .Lfunc_end16-_ZL20rocblas_tpmvt_kernelILi512EPKPKdPKPdS4_EvbbiT0_llT1_lllT2_li
                                        ; -- End function
	.section	.AMDGPU.csdata,"",@progbits
; Kernel info:
; codeLenInByte = 1184
; NumSgprs: 27
; NumVgprs: 20
; ScratchSize: 0
; MemoryBound: 0
; FloatMode: 240
; IeeeMode: 1
; LDSByteSize: 0 bytes/workgroup (compile time only)
; SGPRBlocks: 3
; VGPRBlocks: 2
; NumSGPRsForWavesPerEU: 27
; NumVGPRsForWavesPerEU: 20
; Occupancy: 16
; WaveLimiterHint : 1
; COMPUTE_PGM_RSRC2:SCRATCH_EN: 0
; COMPUTE_PGM_RSRC2:USER_SGPR: 14
; COMPUTE_PGM_RSRC2:TRAP_HANDLER: 0
; COMPUTE_PGM_RSRC2:TGID_X_EN: 1
; COMPUTE_PGM_RSRC2:TGID_Y_EN: 0
; COMPUTE_PGM_RSRC2:TGID_Z_EN: 1
; COMPUTE_PGM_RSRC2:TIDIG_COMP_CNT: 0
	.section	.text._ZL20rocblas_tpmvc_kernelILi512EPKPKdPKPdS4_EvbbiT0_llT1_lllT2_li,"axG",@progbits,_ZL20rocblas_tpmvc_kernelILi512EPKPKdPKPdS4_EvbbiT0_llT1_lllT2_li,comdat
	.globl	_ZL20rocblas_tpmvc_kernelILi512EPKPKdPKPdS4_EvbbiT0_llT1_lllT2_li ; -- Begin function _ZL20rocblas_tpmvc_kernelILi512EPKPKdPKPdS4_EvbbiT0_llT1_lllT2_li
	.p2align	8
	.type	_ZL20rocblas_tpmvc_kernelILi512EPKPKdPKPdS4_EvbbiT0_llT1_lllT2_li,@function
_ZL20rocblas_tpmvc_kernelILi512EPKPKdPKPdS4_EvbbiT0_llT1_lllT2_li: ; @_ZL20rocblas_tpmvc_kernelILi512EPKPKdPKPdS4_EvbbiT0_llT1_lllT2_li
; %bb.0:
	s_clause 0x1
	s_load_b32 s5, s[0:1], 0x64
	s_load_b64 s[2:3], s[0:1], 0x0
	s_waitcnt lgkmcnt(0)
	s_and_b32 s5, s5, 0xffff
	s_delay_alu instid0(SALU_CYCLE_1) | instskip(SKIP_1) | instid1(VALU_DEP_1)
	v_mad_u64_u32 v[1:2], null, s14, s5, v[0:1]
	s_mov_b32 s5, exec_lo
	v_cmpx_gt_i32_e64 s3, v1
	s_cbranch_execz .LBB17_18
; %bb.1:
	s_mov_b32 s4, s15
	s_clause 0x1
	s_load_b32 s5, s[0:1], 0x0
	s_load_b128 s[12:15], s[0:1], 0x8
	v_ashrrev_i32_e32 v2, 31, v1
	s_waitcnt lgkmcnt(0)
	s_and_b32 s24, s5, 1
	s_bitcmp1_b32 s2, 8
	s_mov_b32 s5, 0
	s_cselect_b32 s2, -1, 0
	s_lshl_b64 s[6:7], s[4:5], 3
	s_xor_b32 s19, s2, -1
	s_add_u32 s8, s12, s6
	s_addc_u32 s9, s13, s7
	s_load_b64 s[10:11], s[8:9], 0x0
	s_clause 0x1
	s_load_b128 s[20:23], s[0:1], 0x20
	s_load_b64 s[8:9], s[0:1], 0x30
	s_lshl_b64 s[12:13], s[14:15], 3
	s_mov_b32 s2, -1
	s_waitcnt lgkmcnt(0)
	s_add_u32 s5, s10, s12
	s_addc_u32 s18, s11, s13
	s_add_u32 s6, s20, s6
	s_addc_u32 s7, s21, s7
	v_mul_lo_u32 v0, v1, s9
	s_load_b64 s[14:15], s[6:7], 0x0
	v_mul_lo_u32 v5, v2, s8
	v_mad_u64_u32 v[3:4], null, v1, s8, 0
	s_lshl_b64 s[16:17], s[22:23], 3
	s_delay_alu instid0(VALU_DEP_1) | instskip(SKIP_1) | instid1(VALU_DEP_2)
	v_add3_u32 v4, v4, v0, v5
	v_cndmask_b32_e64 v0, 0, 1, s19
	v_lshlrev_b64 v[3:4], 3, v[3:4]
	s_waitcnt lgkmcnt(0)
	s_add_u32 s6, s14, s16
	s_addc_u32 s7, s15, s17
	s_delay_alu instid0(VALU_DEP_1) | instskip(NEXT) | instid1(VALU_DEP_2)
	v_add_co_u32 v3, vcc_lo, s6, v3
	v_add_co_ci_u32_e32 v4, vcc_lo, s7, v4, vcc_lo
	v_cmp_ne_u32_e32 vcc_lo, 1, v0
	s_cmp_eq_u32 s24, 0
	global_load_b64 v[3:4], v[3:4], off
	s_cbranch_scc0 .LBB17_9
; %bb.2:
	s_waitcnt vmcnt(0)
	v_dual_mov_b32 v6, v4 :: v_dual_mov_b32 v5, v3
	s_and_b32 vcc_lo, exec_lo, vcc_lo
	s_cbranch_vccnz .LBB17_4
; %bb.3:
	v_add_co_u32 v0, vcc_lo, v1, -1
	v_add_co_ci_u32_e32 v5, vcc_lo, -1, v2, vcc_lo
	s_delay_alu instid0(VALU_DEP_2) | instskip(NEXT) | instid1(VALU_DEP_2)
	v_mul_lo_u32 v8, v0, v2
	v_mul_lo_u32 v7, v5, v1
	v_mad_u64_u32 v[5:6], null, v0, v1, 0
	s_delay_alu instid0(VALU_DEP_1) | instskip(SKIP_1) | instid1(VALU_DEP_2)
	v_add3_u32 v6, v6, v8, v7
	v_mad_i64_i32 v[7:8], null, v1, s3, 0
	v_lshrrev_b64 v[5:6], 1, v[5:6]
	s_delay_alu instid0(VALU_DEP_1) | instskip(NEXT) | instid1(VALU_DEP_2)
	v_sub_co_u32 v5, vcc_lo, v7, v5
	v_sub_co_ci_u32_e32 v6, vcc_lo, v8, v6, vcc_lo
	s_delay_alu instid0(VALU_DEP_1) | instskip(NEXT) | instid1(VALU_DEP_1)
	v_lshlrev_b64 v[5:6], 3, v[5:6]
	v_add_co_u32 v5, vcc_lo, s5, v5
	s_delay_alu instid0(VALU_DEP_2)
	v_add_co_ci_u32_e32 v6, vcc_lo, s18, v6, vcc_lo
	global_load_b64 v[5:6], v[5:6], off
	s_waitcnt vmcnt(0)
	v_mul_f64 v[5:6], v[3:4], v[5:6]
.LBB17_4:
	v_add_nc_u32_e32 v7, 1, v1
	s_mov_b32 s20, exec_lo
	s_delay_alu instid0(VALU_DEP_1)
	v_cmpx_gt_i32_e64 s3, v7
	s_cbranch_execz .LBB17_8
; %bb.5:
	v_add_co_u32 v0, vcc_lo, v1, -1
	v_add_co_ci_u32_e32 v8, vcc_lo, -1, v2, vcc_lo
	s_ashr_i32 s23, s3, 31
	s_delay_alu instid0(VALU_DEP_2) | instskip(SKIP_1) | instid1(VALU_DEP_3)
	v_mul_lo_u32 v12, v0, v2
	v_mad_u64_u32 v[9:10], null, v0, v1, 0
	v_mul_lo_u32 v11, v8, v1
	s_mov_b32 s22, s3
	s_add_u32 s2, s14, s16
	v_ashrrev_i32_e32 v8, 31, v7
	s_addc_u32 s21, s15, s17
	s_lshl_b64 s[16:17], s[22:23], 3
	s_lshl_b64 s[14:15], s[8:9], 3
	s_add_u32 s16, s16, -8
	s_addc_u32 s17, s17, -1
	v_mul_lo_u32 v0, s9, v7
	v_mul_lo_u32 v17, s8, v8
	v_add3_u32 v10, v10, v12, v11
	v_mad_u64_u32 v[11:12], null, s8, v7, 0
	v_mad_u64_u32 v[13:14], null, s16, v1, s[12:13]
	v_mul_lo_u32 v18, s16, v2
	v_mul_lo_u32 v19, s17, v1
	v_lshlrev_b64 v[9:10], 2, v[9:10]
	v_lshlrev_b64 v[15:16], 3, v[7:8]
	v_add3_u32 v12, v12, v17, v0
	s_delay_alu instid0(VALU_DEP_4) | instskip(NEXT) | instid1(VALU_DEP_4)
	v_add3_u32 v0, v19, v14, v18
	v_and_b32_e32 v14, -8, v9
	s_delay_alu instid0(VALU_DEP_4) | instskip(NEXT) | instid1(VALU_DEP_4)
	v_add_co_u32 v13, vcc_lo, v13, v15
	v_lshlrev_b64 v[8:9], 3, v[11:12]
	s_delay_alu instid0(VALU_DEP_4) | instskip(NEXT) | instid1(VALU_DEP_3)
	v_add_co_ci_u32_e32 v0, vcc_lo, v0, v16, vcc_lo
	v_sub_co_u32 v11, vcc_lo, v13, v14
	s_delay_alu instid0(VALU_DEP_2) | instskip(NEXT) | instid1(VALU_DEP_4)
	v_sub_co_ci_u32_e32 v0, vcc_lo, v0, v10, vcc_lo
	v_add_co_u32 v8, vcc_lo, s2, v8
	v_add_co_ci_u32_e32 v9, vcc_lo, s21, v9, vcc_lo
	s_delay_alu instid0(VALU_DEP_4) | instskip(NEXT) | instid1(VALU_DEP_4)
	v_add_co_u32 v10, vcc_lo, s10, v11
	v_add_co_ci_u32_e32 v11, vcc_lo, s11, v0, vcc_lo
	s_mov_b32 s10, 0
	.p2align	6
.LBB17_6:                               ; =>This Inner Loop Header: Depth=1
	global_load_b64 v[12:13], v[10:11], off
	global_load_b64 v[14:15], v[8:9], off
	v_add_nc_u32_e32 v7, 1, v7
	v_add_co_u32 v8, vcc_lo, v8, s14
	v_add_co_ci_u32_e32 v9, vcc_lo, s15, v9, vcc_lo
	s_delay_alu instid0(VALU_DEP_3) | instskip(SKIP_1) | instid1(VALU_DEP_1)
	v_cmp_le_i32_e32 vcc_lo, s3, v7
	v_add_co_u32 v10, s2, v10, 8
	v_add_co_ci_u32_e64 v11, s2, 0, v11, s2
	s_or_b32 s10, vcc_lo, s10
	s_waitcnt vmcnt(0)
	v_fma_f64 v[5:6], v[12:13], v[14:15], v[5:6]
	s_and_not1_b32 exec_lo, exec_lo, s10
	s_cbranch_execnz .LBB17_6
; %bb.7:
	s_or_b32 exec_lo, exec_lo, s10
.LBB17_8:
	s_delay_alu instid0(SALU_CYCLE_1)
	s_or_b32 exec_lo, exec_lo, s20
	s_branch .LBB17_17
.LBB17_9:
                                        ; implicit-def: $vgpr5_vgpr6
	s_and_b32 vcc_lo, exec_lo, s2
	s_cbranch_vccz .LBB17_17
; %bb.10:
	v_add_nc_u32_e32 v0, 1, v1
	s_and_not1_b32 vcc_lo, exec_lo, s19
	s_cbranch_vccnz .LBB17_12
; %bb.11:
	s_delay_alu instid0(VALU_DEP_1) | instskip(SKIP_1) | instid1(VALU_DEP_2)
	v_mad_i64_i32 v[5:6], null, v0, v1, 0
	v_lshlrev_b64 v[7:8], 3, v[1:2]
	v_lshlrev_b64 v[5:6], 2, v[5:6]
	s_delay_alu instid0(VALU_DEP_1) | instskip(NEXT) | instid1(VALU_DEP_1)
	v_and_b32_e32 v5, -8, v5
	v_add_co_u32 v5, vcc_lo, s5, v5
	s_delay_alu instid0(VALU_DEP_3) | instskip(NEXT) | instid1(VALU_DEP_2)
	v_add_co_ci_u32_e32 v6, vcc_lo, s18, v6, vcc_lo
	v_add_co_u32 v5, vcc_lo, v5, v7
	s_delay_alu instid0(VALU_DEP_2)
	v_add_co_ci_u32_e32 v6, vcc_lo, v6, v8, vcc_lo
	global_load_b64 v[5:6], v[5:6], off
	s_waitcnt vmcnt(0)
	v_mul_f64 v[3:4], v[3:4], v[5:6]
.LBB17_12:
	s_mov_b32 s10, 0
	s_mov_b32 s3, exec_lo
	v_cmpx_lt_i32_e32 0, v1
	s_cbranch_execz .LBB17_16
; %bb.13:
	v_mad_u64_u32 v[5:6], null, v0, v1, 0
	s_lshl_b64 s[8:9], s[8:9], 3
	s_delay_alu instid0(VALU_DEP_1) | instskip(NEXT) | instid1(VALU_DEP_1)
	v_mad_u64_u32 v[7:8], null, v0, v2, v[6:7]
	v_mov_b32_e32 v6, v7
	s_delay_alu instid0(VALU_DEP_1) | instskip(NEXT) | instid1(VALU_DEP_1)
	v_lshlrev_b64 v[5:6], 2, v[5:6]
	v_and_b32_e32 v0, -8, v5
	s_delay_alu instid0(VALU_DEP_1) | instskip(NEXT) | instid1(VALU_DEP_3)
	v_add_co_u32 v5, vcc_lo, s5, v0
	v_add_co_ci_u32_e32 v6, vcc_lo, s18, v6, vcc_lo
	v_mov_b32_e32 v0, v1
	.p2align	6
.LBB17_14:                              ; =>This Inner Loop Header: Depth=1
	global_load_b64 v[7:8], v[5:6], off
	s_load_b64 s[12:13], s[6:7], 0x0
	v_add_nc_u32_e32 v0, -1, v0
	v_add_co_u32 v5, vcc_lo, v5, 8
	v_add_co_ci_u32_e32 v6, vcc_lo, 0, v6, vcc_lo
	s_delay_alu instid0(VALU_DEP_3) | instskip(SKIP_2) | instid1(VALU_DEP_1)
	v_cmp_eq_u32_e64 s2, 0, v0
	s_add_u32 s6, s6, s8
	s_addc_u32 s7, s7, s9
	s_or_b32 s10, s2, s10
	s_waitcnt vmcnt(0) lgkmcnt(0)
	v_fma_f64 v[3:4], v[7:8], s[12:13], v[3:4]
	s_and_not1_b32 exec_lo, exec_lo, s10
	s_cbranch_execnz .LBB17_14
; %bb.15:
	s_or_b32 exec_lo, exec_lo, s10
.LBB17_16:
	s_delay_alu instid0(SALU_CYCLE_1) | instskip(SKIP_1) | instid1(VALU_DEP_1)
	s_or_b32 exec_lo, exec_lo, s3
	s_waitcnt vmcnt(0)
	v_dual_mov_b32 v6, v4 :: v_dual_mov_b32 v5, v3
.LBB17_17:
	s_load_b128 s[0:3], s[0:1], 0x40
	v_lshlrev_b64 v[0:1], 3, v[1:2]
	s_waitcnt lgkmcnt(0)
	s_mul_i32 s3, s4, s3
	s_mul_hi_u32 s5, s4, s2
	s_mul_i32 s2, s4, s2
	s_add_i32 s3, s5, s3
	s_delay_alu instid0(SALU_CYCLE_1) | instskip(NEXT) | instid1(SALU_CYCLE_1)
	s_lshl_b64 s[2:3], s[2:3], 3
	s_add_u32 s0, s0, s2
	s_addc_u32 s1, s1, s3
	v_add_co_u32 v0, vcc_lo, s0, v0
	v_add_co_ci_u32_e32 v1, vcc_lo, s1, v1, vcc_lo
	global_store_b64 v[0:1], v[5:6], off
.LBB17_18:
	s_nop 0
	s_sendmsg sendmsg(MSG_DEALLOC_VGPRS)
	s_endpgm
	.section	.rodata,"a",@progbits
	.p2align	6, 0x0
	.amdhsa_kernel _ZL20rocblas_tpmvc_kernelILi512EPKPKdPKPdS4_EvbbiT0_llT1_lllT2_li
		.amdhsa_group_segment_fixed_size 0
		.amdhsa_private_segment_fixed_size 0
		.amdhsa_kernarg_size 344
		.amdhsa_user_sgpr_count 14
		.amdhsa_user_sgpr_dispatch_ptr 0
		.amdhsa_user_sgpr_queue_ptr 0
		.amdhsa_user_sgpr_kernarg_segment_ptr 1
		.amdhsa_user_sgpr_dispatch_id 0
		.amdhsa_user_sgpr_private_segment_size 0
		.amdhsa_wavefront_size32 1
		.amdhsa_uses_dynamic_stack 0
		.amdhsa_enable_private_segment 0
		.amdhsa_system_sgpr_workgroup_id_x 1
		.amdhsa_system_sgpr_workgroup_id_y 0
		.amdhsa_system_sgpr_workgroup_id_z 1
		.amdhsa_system_sgpr_workgroup_info 0
		.amdhsa_system_vgpr_workitem_id 0
		.amdhsa_next_free_vgpr 20
		.amdhsa_next_free_sgpr 25
		.amdhsa_reserve_vcc 1
		.amdhsa_float_round_mode_32 0
		.amdhsa_float_round_mode_16_64 0
		.amdhsa_float_denorm_mode_32 3
		.amdhsa_float_denorm_mode_16_64 3
		.amdhsa_dx10_clamp 1
		.amdhsa_ieee_mode 1
		.amdhsa_fp16_overflow 0
		.amdhsa_workgroup_processor_mode 1
		.amdhsa_memory_ordered 1
		.amdhsa_forward_progress 0
		.amdhsa_shared_vgpr_count 0
		.amdhsa_exception_fp_ieee_invalid_op 0
		.amdhsa_exception_fp_denorm_src 0
		.amdhsa_exception_fp_ieee_div_zero 0
		.amdhsa_exception_fp_ieee_overflow 0
		.amdhsa_exception_fp_ieee_underflow 0
		.amdhsa_exception_fp_ieee_inexact 0
		.amdhsa_exception_int_div_zero 0
	.end_amdhsa_kernel
	.section	.text._ZL20rocblas_tpmvc_kernelILi512EPKPKdPKPdS4_EvbbiT0_llT1_lllT2_li,"axG",@progbits,_ZL20rocblas_tpmvc_kernelILi512EPKPKdPKPdS4_EvbbiT0_llT1_lllT2_li,comdat
.Lfunc_end17:
	.size	_ZL20rocblas_tpmvc_kernelILi512EPKPKdPKPdS4_EvbbiT0_llT1_lllT2_li, .Lfunc_end17-_ZL20rocblas_tpmvc_kernelILi512EPKPKdPKPdS4_EvbbiT0_llT1_lllT2_li
                                        ; -- End function
	.section	.AMDGPU.csdata,"",@progbits
; Kernel info:
; codeLenInByte = 1184
; NumSgprs: 27
; NumVgprs: 20
; ScratchSize: 0
; MemoryBound: 0
; FloatMode: 240
; IeeeMode: 1
; LDSByteSize: 0 bytes/workgroup (compile time only)
; SGPRBlocks: 3
; VGPRBlocks: 2
; NumSGPRsForWavesPerEU: 27
; NumVGPRsForWavesPerEU: 20
; Occupancy: 16
; WaveLimiterHint : 1
; COMPUTE_PGM_RSRC2:SCRATCH_EN: 0
; COMPUTE_PGM_RSRC2:USER_SGPR: 14
; COMPUTE_PGM_RSRC2:TRAP_HANDLER: 0
; COMPUTE_PGM_RSRC2:TGID_X_EN: 1
; COMPUTE_PGM_RSRC2:TGID_Y_EN: 0
; COMPUTE_PGM_RSRC2:TGID_Z_EN: 1
; COMPUTE_PGM_RSRC2:TIDIG_COMP_CNT: 0
	.section	.text._ZL20rocblas_tpmvn_kernelILi512EPKPK19rocblas_complex_numIfEPKPS1_S6_EvbbiT0_llT1_lllT2_li,"axG",@progbits,_ZL20rocblas_tpmvn_kernelILi512EPKPK19rocblas_complex_numIfEPKPS1_S6_EvbbiT0_llT1_lllT2_li,comdat
	.globl	_ZL20rocblas_tpmvn_kernelILi512EPKPK19rocblas_complex_numIfEPKPS1_S6_EvbbiT0_llT1_lllT2_li ; -- Begin function _ZL20rocblas_tpmvn_kernelILi512EPKPK19rocblas_complex_numIfEPKPS1_S6_EvbbiT0_llT1_lllT2_li
	.p2align	8
	.type	_ZL20rocblas_tpmvn_kernelILi512EPKPK19rocblas_complex_numIfEPKPS1_S6_EvbbiT0_llT1_lllT2_li,@function
_ZL20rocblas_tpmvn_kernelILi512EPKPK19rocblas_complex_numIfEPKPS1_S6_EvbbiT0_llT1_lllT2_li: ; @_ZL20rocblas_tpmvn_kernelILi512EPKPK19rocblas_complex_numIfEPKPS1_S6_EvbbiT0_llT1_lllT2_li
; %bb.0:
	s_clause 0x1
	s_load_b32 s3, s[0:1], 0x64
	s_load_b64 s[4:5], s[0:1], 0x0
	s_waitcnt lgkmcnt(0)
	s_and_b32 s3, s3, 0xffff
	s_delay_alu instid0(SALU_CYCLE_1) | instskip(SKIP_1) | instid1(VALU_DEP_1)
	v_mad_u64_u32 v[1:2], null, s14, s3, v[0:1]
	s_mov_b32 s3, exec_lo
	v_cmpx_gt_i32_e64 s5, v1
	s_cbranch_execz .LBB18_18
; %bb.1:
	s_clause 0x1
	s_load_b32 s3, s[0:1], 0x0
	s_load_b128 s[8:11], s[0:1], 0x8
	s_mov_b32 s2, s15
	v_ashrrev_i32_e32 v2, 31, v1
	s_waitcnt lgkmcnt(0)
	s_and_b32 s21, s3, 1
	s_bitcmp1_b32 s4, 8
	s_mov_b32 s3, 0
	s_cselect_b32 s4, -1, 0
	s_lshl_b64 s[22:23], s[2:3], 3
	s_xor_b32 s20, s4, -1
	s_add_u32 s6, s8, s22
	s_addc_u32 s7, s9, s23
	s_lshl_b64 s[14:15], s[10:11], 3
	s_load_b64 s[12:13], s[6:7], 0x0
	s_clause 0x1
	s_load_b128 s[16:19], s[0:1], 0x20
	s_load_b64 s[6:7], s[0:1], 0x30
	s_waitcnt lgkmcnt(0)
	s_add_u32 s3, s12, s14
	s_addc_u32 s4, s13, s15
	s_add_u32 s8, s16, s22
	s_addc_u32 s9, s17, s23
	v_mul_lo_u32 v0, v1, s7
	s_load_b64 s[8:9], s[8:9], 0x0
	v_mul_lo_u32 v5, v2, s6
	v_mad_u64_u32 v[3:4], null, v1, s6, 0
	s_lshl_b64 s[10:11], s[18:19], 3
	s_delay_alu instid0(VALU_DEP_1) | instskip(SKIP_1) | instid1(VALU_DEP_2)
	v_add3_u32 v4, v4, v0, v5
	v_cndmask_b32_e64 v0, 0, 1, s20
	v_lshlrev_b64 v[3:4], 3, v[3:4]
	s_waitcnt lgkmcnt(0)
	s_add_u32 s16, s8, s10
	s_addc_u32 s17, s9, s11
	s_delay_alu instid0(VALU_DEP_1) | instskip(NEXT) | instid1(VALU_DEP_2)
	v_add_co_u32 v3, vcc_lo, s16, v3
	v_add_co_ci_u32_e32 v4, vcc_lo, s17, v4, vcc_lo
	v_cmp_ne_u32_e32 vcc_lo, 1, v0
	s_cmp_eq_u32 s21, 0
	s_mov_b32 s21, -1
	global_load_b64 v[3:4], v[3:4], off
	s_cbranch_scc0 .LBB18_9
; %bb.2:
	s_waitcnt vmcnt(0)
	v_dual_mov_b32 v5, v3 :: v_dual_mov_b32 v6, v4
	s_and_b32 vcc_lo, exec_lo, vcc_lo
	s_cbranch_vccnz .LBB18_4
; %bb.3:
	v_add_co_u32 v0, vcc_lo, v1, -1
	v_add_co_ci_u32_e32 v5, vcc_lo, -1, v2, vcc_lo
	s_delay_alu instid0(VALU_DEP_2) | instskip(NEXT) | instid1(VALU_DEP_2)
	v_mul_lo_u32 v8, v0, v2
	v_mul_lo_u32 v7, v5, v1
	v_mad_u64_u32 v[5:6], null, v0, v1, 0
	s_delay_alu instid0(VALU_DEP_1) | instskip(SKIP_1) | instid1(VALU_DEP_2)
	v_add3_u32 v6, v6, v8, v7
	v_mad_i64_i32 v[7:8], null, v1, s5, 0
	v_lshrrev_b64 v[5:6], 1, v[5:6]
	s_delay_alu instid0(VALU_DEP_1) | instskip(NEXT) | instid1(VALU_DEP_2)
	v_sub_co_u32 v5, vcc_lo, v7, v5
	v_sub_co_ci_u32_e32 v6, vcc_lo, v8, v6, vcc_lo
	s_delay_alu instid0(VALU_DEP_1) | instskip(NEXT) | instid1(VALU_DEP_1)
	v_lshlrev_b64 v[5:6], 3, v[5:6]
	v_add_co_u32 v5, vcc_lo, s3, v5
	s_delay_alu instid0(VALU_DEP_2) | instskip(SKIP_4) | instid1(VALU_DEP_2)
	v_add_co_ci_u32_e32 v6, vcc_lo, s4, v6, vcc_lo
	global_load_b64 v[7:8], v[5:6], off
	s_waitcnt vmcnt(0)
	v_mul_f32_e32 v0, v4, v8
	v_mul_f32_e32 v6, v3, v8
	v_fma_f32 v5, v3, v7, -v0
	s_delay_alu instid0(VALU_DEP_2)
	v_fmac_f32_e32 v6, v4, v7
.LBB18_4:
	s_mov_b32 s21, 0
	s_mov_b32 s22, exec_lo
	v_cmpx_lt_i32_e32 0, v1
	s_cbranch_execz .LBB18_8
; %bb.5:
	v_lshlrev_b64 v[7:8], 3, v[1:2]
	s_ashr_i32 s17, s5, 31
	s_mov_b32 s16, s5
	s_add_u32 s14, s12, s14
	s_addc_u32 s15, s13, s15
	s_lshl_b64 s[12:13], s[16:17], 3
	v_add_co_u32 v0, vcc_lo, s14, v7
	s_add_u32 s23, s12, -8
	s_addc_u32 s24, s13, -1
	v_add_co_ci_u32_e32 v7, vcc_lo, s15, v8, vcc_lo
	s_add_u32 s12, s8, s10
	s_addc_u32 s13, s9, s11
	s_add_u32 s25, s12, 4
	s_addc_u32 s26, s13, 0
	s_lshl_b64 s[12:13], s[6:7], 3
	s_mov_b64 s[14:15], 0
	s_mov_b32 s27, 0
	s_mov_b64 s[18:19], 0
	s_mov_b64 s[16:17], 0
	s_set_inst_prefetch_distance 0x1
	.p2align	6
.LBB18_6:                               ; =>This Inner Loop Header: Depth=1
	s_lshl_b64 s[28:29], s[14:15], 2
	s_delay_alu instid0(SALU_CYCLE_1) | instskip(NEXT) | instid1(SALU_CYCLE_1)
	s_and_b32 s28, s28, -8
	v_sub_co_u32 v8, vcc_lo, v0, s28
	v_subrev_co_ci_u32_e32 v9, vcc_lo, s29, v7, vcc_lo
	s_add_u32 s28, s25, -4
	s_addc_u32 s29, s26, -1
	v_add_co_u32 v0, vcc_lo, v0, s23
	global_load_b64 v[8:9], v[8:9], off
	s_load_b64 s[28:29], s[28:29], 0x0
	s_add_u32 s16, s16, 1
	s_addc_u32 s17, s17, 0
	v_add_co_ci_u32_e32 v7, vcc_lo, s24, v7, vcc_lo
	s_add_u32 s30, s18, 2
	v_cmp_eq_u32_e32 vcc_lo, s16, v1
	s_addc_u32 s31, s19, 0
	s_add_u32 s14, s14, s18
	s_addc_u32 s15, s15, s19
	s_add_u32 s25, s25, s12
	s_addc_u32 s26, s26, s13
	s_or_b32 s27, vcc_lo, s27
	s_mov_b64 s[18:19], s[30:31]
	s_waitcnt vmcnt(0) lgkmcnt(0)
	v_mul_f32_e32 v10, s29, v9
	v_mul_f32_e32 v9, s28, v9
	s_delay_alu instid0(VALU_DEP_1) | instskip(NEXT) | instid1(VALU_DEP_3)
	v_fmac_f32_e32 v9, s29, v8
	v_fma_f32 v10, s28, v8, -v10
	s_delay_alu instid0(VALU_DEP_1)
	v_dual_add_f32 v6, v6, v9 :: v_dual_add_f32 v5, v5, v10
	s_and_not1_b32 exec_lo, exec_lo, s27
	s_cbranch_execnz .LBB18_6
; %bb.7:
	s_set_inst_prefetch_distance 0x2
	s_or_b32 exec_lo, exec_lo, s27
.LBB18_8:
	s_delay_alu instid0(SALU_CYCLE_1) | instskip(NEXT) | instid1(SALU_CYCLE_1)
	s_or_b32 exec_lo, exec_lo, s22
	s_and_b32 vcc_lo, exec_lo, s21
	s_cbranch_vccnz .LBB18_10
	s_branch .LBB18_17
.LBB18_9:
                                        ; implicit-def: $vgpr6
	s_and_b32 vcc_lo, exec_lo, s21
	s_cbranch_vccz .LBB18_17
.LBB18_10:
	v_add_nc_u32_e32 v5, 1, v1
	s_and_not1_b32 vcc_lo, exec_lo, s20
	s_cbranch_vccnz .LBB18_12
; %bb.11:
	s_delay_alu instid0(VALU_DEP_1) | instskip(SKIP_1) | instid1(VALU_DEP_2)
	v_mad_i64_i32 v[6:7], null, v5, v1, 0
	v_lshlrev_b64 v[8:9], 3, v[1:2]
	v_lshlrev_b64 v[6:7], 2, v[6:7]
	s_delay_alu instid0(VALU_DEP_1) | instskip(NEXT) | instid1(VALU_DEP_1)
	v_and_b32_e32 v0, -8, v6
	v_add_co_u32 v0, vcc_lo, s3, v0
	s_delay_alu instid0(VALU_DEP_3) | instskip(NEXT) | instid1(VALU_DEP_2)
	v_add_co_ci_u32_e32 v7, vcc_lo, s4, v7, vcc_lo
	v_add_co_u32 v6, vcc_lo, v0, v8
	s_delay_alu instid0(VALU_DEP_2) | instskip(SKIP_4) | instid1(VALU_DEP_2)
	v_add_co_ci_u32_e32 v7, vcc_lo, v7, v9, vcc_lo
	global_load_b64 v[6:7], v[6:7], off
	s_waitcnt vmcnt(0)
	v_mul_f32_e32 v0, v4, v7
	v_mul_f32_e32 v7, v3, v7
	v_fma_f32 v3, v3, v6, -v0
	s_delay_alu instid0(VALU_DEP_2) | instskip(NEXT) | instid1(VALU_DEP_1)
	v_fmac_f32_e32 v7, v4, v6
	v_mov_b32_e32 v4, v7
.LBB18_12:
	s_mov_b32 s12, exec_lo
	s_delay_alu instid0(VALU_DEP_1)
	v_cmpx_gt_i32_e64 s5, v5
	s_cbranch_execz .LBB18_16
; %bb.13:
	v_ashrrev_i32_e32 v6, 31, v5
	v_mul_lo_u32 v0, s7, v5
	v_mad_u64_u32 v[7:8], null, s6, v5, 0
	v_lshlrev_b64 v[10:11], 3, v[1:2]
	s_delay_alu instid0(VALU_DEP_4) | instskip(SKIP_3) | instid1(VALU_DEP_1)
	v_mul_lo_u32 v9, s6, v6
	s_add_u32 s8, s8, s10
	s_addc_u32 s9, s9, s11
	s_lshl_b64 s[6:7], s[6:7], 3
	v_add3_u32 v8, v8, v9, v0
	v_add_nc_u32_e32 v0, 2, v1
	s_delay_alu instid0(VALU_DEP_2) | instskip(NEXT) | instid1(VALU_DEP_2)
	v_lshlrev_b64 v[7:8], 3, v[7:8]
	v_ashrrev_i32_e32 v9, 31, v0
	s_delay_alu instid0(VALU_DEP_2) | instskip(NEXT) | instid1(VALU_DEP_3)
	v_add_co_u32 v7, vcc_lo, s8, v7
	v_add_co_ci_u32_e32 v8, vcc_lo, s9, v8, vcc_lo
	v_add_co_u32 v10, vcc_lo, s3, v10
	v_add_co_ci_u32_e32 v11, vcc_lo, s4, v11, vcc_lo
	s_delay_alu instid0(VALU_DEP_4) | instskip(NEXT) | instid1(VALU_DEP_4)
	v_add_co_u32 v7, vcc_lo, v7, 4
	v_add_co_ci_u32_e32 v8, vcc_lo, 0, v8, vcc_lo
	s_mov_b32 s3, 0
	s_set_inst_prefetch_distance 0x1
	.p2align	6
.LBB18_14:                              ; =>This Inner Loop Header: Depth=1
	v_mul_lo_u32 v14, v9, v5
	v_mul_lo_u32 v15, v0, v6
	v_mad_u64_u32 v[12:13], null, v0, v5, 0
	s_delay_alu instid0(VALU_DEP_1) | instskip(NEXT) | instid1(VALU_DEP_1)
	v_add3_u32 v13, v13, v15, v14
	v_lshlrev_b64 v[12:13], 2, v[12:13]
	s_delay_alu instid0(VALU_DEP_1) | instskip(NEXT) | instid1(VALU_DEP_1)
	v_and_b32_e32 v12, -8, v12
	v_add_co_u32 v12, vcc_lo, v10, v12
	s_delay_alu instid0(VALU_DEP_3)
	v_add_co_ci_u32_e32 v13, vcc_lo, v11, v13, vcc_lo
	global_load_b64 v[14:15], v[7:8], off offset:-4
	global_load_b64 v[12:13], v[12:13], off
	v_add_co_u32 v5, vcc_lo, v5, 1
	v_add_co_ci_u32_e32 v6, vcc_lo, 0, v6, vcc_lo
	v_add_co_u32 v0, vcc_lo, v0, 1
	v_add_co_ci_u32_e32 v9, vcc_lo, 0, v9, vcc_lo
	;; [unrolled: 2-line block ×3, first 2 shown]
	v_cmp_le_i32_e32 vcc_lo, s5, v5
	s_or_b32 s3, vcc_lo, s3
	s_waitcnt vmcnt(0)
	v_mul_f32_e32 v16, v15, v13
	v_mul_f32_e32 v13, v14, v13
	s_delay_alu instid0(VALU_DEP_2) | instskip(NEXT) | instid1(VALU_DEP_2)
	v_fma_f32 v14, v14, v12, -v16
	v_fmac_f32_e32 v13, v15, v12
	s_delay_alu instid0(VALU_DEP_1)
	v_dual_add_f32 v3, v3, v14 :: v_dual_add_f32 v4, v4, v13
	s_and_not1_b32 exec_lo, exec_lo, s3
	s_cbranch_execnz .LBB18_14
; %bb.15:
	s_set_inst_prefetch_distance 0x2
	s_or_b32 exec_lo, exec_lo, s3
.LBB18_16:
	s_delay_alu instid0(SALU_CYCLE_1)
	s_or_b32 exec_lo, exec_lo, s12
	s_waitcnt vmcnt(0)
	v_dual_mov_b32 v6, v4 :: v_dual_mov_b32 v5, v3
.LBB18_17:
	s_load_b128 s[4:7], s[0:1], 0x40
	v_lshlrev_b64 v[0:1], 3, v[1:2]
	s_waitcnt lgkmcnt(0)
	s_mul_i32 s1, s2, s7
	s_mul_hi_u32 s3, s2, s6
	s_mul_i32 s0, s2, s6
	s_add_i32 s1, s3, s1
	s_delay_alu instid0(SALU_CYCLE_1) | instskip(NEXT) | instid1(SALU_CYCLE_1)
	s_lshl_b64 s[0:1], s[0:1], 3
	s_add_u32 s0, s4, s0
	s_addc_u32 s1, s5, s1
	v_add_co_u32 v0, vcc_lo, s0, v0
	v_add_co_ci_u32_e32 v1, vcc_lo, s1, v1, vcc_lo
	global_store_b64 v[0:1], v[5:6], off
.LBB18_18:
	s_nop 0
	s_sendmsg sendmsg(MSG_DEALLOC_VGPRS)
	s_endpgm
	.section	.rodata,"a",@progbits
	.p2align	6, 0x0
	.amdhsa_kernel _ZL20rocblas_tpmvn_kernelILi512EPKPK19rocblas_complex_numIfEPKPS1_S6_EvbbiT0_llT1_lllT2_li
		.amdhsa_group_segment_fixed_size 0
		.amdhsa_private_segment_fixed_size 0
		.amdhsa_kernarg_size 344
		.amdhsa_user_sgpr_count 14
		.amdhsa_user_sgpr_dispatch_ptr 0
		.amdhsa_user_sgpr_queue_ptr 0
		.amdhsa_user_sgpr_kernarg_segment_ptr 1
		.amdhsa_user_sgpr_dispatch_id 0
		.amdhsa_user_sgpr_private_segment_size 0
		.amdhsa_wavefront_size32 1
		.amdhsa_uses_dynamic_stack 0
		.amdhsa_enable_private_segment 0
		.amdhsa_system_sgpr_workgroup_id_x 1
		.amdhsa_system_sgpr_workgroup_id_y 0
		.amdhsa_system_sgpr_workgroup_id_z 1
		.amdhsa_system_sgpr_workgroup_info 0
		.amdhsa_system_vgpr_workitem_id 0
		.amdhsa_next_free_vgpr 17
		.amdhsa_next_free_sgpr 32
		.amdhsa_reserve_vcc 1
		.amdhsa_float_round_mode_32 0
		.amdhsa_float_round_mode_16_64 0
		.amdhsa_float_denorm_mode_32 3
		.amdhsa_float_denorm_mode_16_64 3
		.amdhsa_dx10_clamp 1
		.amdhsa_ieee_mode 1
		.amdhsa_fp16_overflow 0
		.amdhsa_workgroup_processor_mode 1
		.amdhsa_memory_ordered 1
		.amdhsa_forward_progress 0
		.amdhsa_shared_vgpr_count 0
		.amdhsa_exception_fp_ieee_invalid_op 0
		.amdhsa_exception_fp_denorm_src 0
		.amdhsa_exception_fp_ieee_div_zero 0
		.amdhsa_exception_fp_ieee_overflow 0
		.amdhsa_exception_fp_ieee_underflow 0
		.amdhsa_exception_fp_ieee_inexact 0
		.amdhsa_exception_int_div_zero 0
	.end_amdhsa_kernel
	.section	.text._ZL20rocblas_tpmvn_kernelILi512EPKPK19rocblas_complex_numIfEPKPS1_S6_EvbbiT0_llT1_lllT2_li,"axG",@progbits,_ZL20rocblas_tpmvn_kernelILi512EPKPK19rocblas_complex_numIfEPKPS1_S6_EvbbiT0_llT1_lllT2_li,comdat
.Lfunc_end18:
	.size	_ZL20rocblas_tpmvn_kernelILi512EPKPK19rocblas_complex_numIfEPKPS1_S6_EvbbiT0_llT1_lllT2_li, .Lfunc_end18-_ZL20rocblas_tpmvn_kernelILi512EPKPK19rocblas_complex_numIfEPKPS1_S6_EvbbiT0_llT1_lllT2_li
                                        ; -- End function
	.section	.AMDGPU.csdata,"",@progbits
; Kernel info:
; codeLenInByte = 1312
; NumSgprs: 34
; NumVgprs: 17
; ScratchSize: 0
; MemoryBound: 0
; FloatMode: 240
; IeeeMode: 1
; LDSByteSize: 0 bytes/workgroup (compile time only)
; SGPRBlocks: 4
; VGPRBlocks: 2
; NumSGPRsForWavesPerEU: 34
; NumVGPRsForWavesPerEU: 17
; Occupancy: 16
; WaveLimiterHint : 1
; COMPUTE_PGM_RSRC2:SCRATCH_EN: 0
; COMPUTE_PGM_RSRC2:USER_SGPR: 14
; COMPUTE_PGM_RSRC2:TRAP_HANDLER: 0
; COMPUTE_PGM_RSRC2:TGID_X_EN: 1
; COMPUTE_PGM_RSRC2:TGID_Y_EN: 0
; COMPUTE_PGM_RSRC2:TGID_Z_EN: 1
; COMPUTE_PGM_RSRC2:TIDIG_COMP_CNT: 0
	.section	.text._ZL20rocblas_tpmvt_kernelILi512EPKPK19rocblas_complex_numIfEPKPS1_S6_EvbbiT0_llT1_lllT2_li,"axG",@progbits,_ZL20rocblas_tpmvt_kernelILi512EPKPK19rocblas_complex_numIfEPKPS1_S6_EvbbiT0_llT1_lllT2_li,comdat
	.globl	_ZL20rocblas_tpmvt_kernelILi512EPKPK19rocblas_complex_numIfEPKPS1_S6_EvbbiT0_llT1_lllT2_li ; -- Begin function _ZL20rocblas_tpmvt_kernelILi512EPKPK19rocblas_complex_numIfEPKPS1_S6_EvbbiT0_llT1_lllT2_li
	.p2align	8
	.type	_ZL20rocblas_tpmvt_kernelILi512EPKPK19rocblas_complex_numIfEPKPS1_S6_EvbbiT0_llT1_lllT2_li,@function
_ZL20rocblas_tpmvt_kernelILi512EPKPK19rocblas_complex_numIfEPKPS1_S6_EvbbiT0_llT1_lllT2_li: ; @_ZL20rocblas_tpmvt_kernelILi512EPKPK19rocblas_complex_numIfEPKPS1_S6_EvbbiT0_llT1_lllT2_li
; %bb.0:
	s_clause 0x1
	s_load_b32 s5, s[0:1], 0x64
	s_load_b64 s[2:3], s[0:1], 0x0
	s_waitcnt lgkmcnt(0)
	s_and_b32 s5, s5, 0xffff
	s_delay_alu instid0(SALU_CYCLE_1) | instskip(SKIP_1) | instid1(VALU_DEP_1)
	v_mad_u64_u32 v[1:2], null, s14, s5, v[0:1]
	s_mov_b32 s5, exec_lo
	v_cmpx_gt_i32_e64 s3, v1
	s_cbranch_execz .LBB19_18
; %bb.1:
	s_clause 0x1
	s_load_b32 s5, s[0:1], 0x0
	s_load_b128 s[8:11], s[0:1], 0x8
	s_mov_b32 s4, s15
	v_ashrrev_i32_e32 v2, 31, v1
	s_waitcnt lgkmcnt(0)
	s_and_b32 s24, s5, 1
	s_bitcmp1_b32 s2, 8
	s_mov_b32 s5, 0
	s_cselect_b32 s2, -1, 0
	s_lshl_b64 s[16:17], s[4:5], 3
	s_xor_b32 s19, s2, -1
	s_add_u32 s6, s8, s16
	s_addc_u32 s7, s9, s17
	s_lshl_b64 s[14:15], s[10:11], 3
	s_load_b64 s[12:13], s[6:7], 0x0
	s_clause 0x1
	s_load_b128 s[20:23], s[0:1], 0x20
	s_load_b64 s[6:7], s[0:1], 0x30
	s_waitcnt lgkmcnt(0)
	s_add_u32 s5, s12, s14
	s_addc_u32 s18, s13, s15
	s_add_u32 s8, s20, s16
	s_addc_u32 s9, s21, s17
	v_mul_lo_u32 v0, v1, s7
	s_load_b64 s[8:9], s[8:9], 0x0
	v_mul_lo_u32 v5, v2, s6
	v_mad_u64_u32 v[3:4], null, v1, s6, 0
	s_lshl_b64 s[10:11], s[22:23], 3
	s_delay_alu instid0(VALU_DEP_1) | instskip(SKIP_1) | instid1(VALU_DEP_2)
	v_add3_u32 v4, v4, v0, v5
	v_cndmask_b32_e64 v0, 0, 1, s19
	v_lshlrev_b64 v[3:4], 3, v[3:4]
	s_waitcnt lgkmcnt(0)
	s_add_u32 s2, s8, s10
	s_addc_u32 s16, s9, s11
	s_delay_alu instid0(VALU_DEP_1) | instskip(NEXT) | instid1(VALU_DEP_2)
	v_add_co_u32 v3, vcc_lo, s2, v3
	v_add_co_ci_u32_e32 v4, vcc_lo, s16, v4, vcc_lo
	v_cmp_ne_u32_e32 vcc_lo, 1, v0
	s_cmp_eq_u32 s24, 0
	s_mov_b32 s2, -1
	global_load_b64 v[3:4], v[3:4], off
	s_cbranch_scc0 .LBB19_9
; %bb.2:
	s_waitcnt vmcnt(0)
	v_dual_mov_b32 v5, v3 :: v_dual_mov_b32 v6, v4
	s_and_b32 vcc_lo, exec_lo, vcc_lo
	s_cbranch_vccnz .LBB19_4
; %bb.3:
	v_add_co_u32 v0, vcc_lo, v1, -1
	v_add_co_ci_u32_e32 v5, vcc_lo, -1, v2, vcc_lo
	s_delay_alu instid0(VALU_DEP_2) | instskip(NEXT) | instid1(VALU_DEP_2)
	v_mul_lo_u32 v8, v0, v2
	v_mul_lo_u32 v7, v5, v1
	v_mad_u64_u32 v[5:6], null, v0, v1, 0
	s_delay_alu instid0(VALU_DEP_1) | instskip(SKIP_1) | instid1(VALU_DEP_2)
	v_add3_u32 v6, v6, v8, v7
	v_mad_i64_i32 v[7:8], null, v1, s3, 0
	v_lshrrev_b64 v[5:6], 1, v[5:6]
	s_delay_alu instid0(VALU_DEP_1) | instskip(NEXT) | instid1(VALU_DEP_2)
	v_sub_co_u32 v5, vcc_lo, v7, v5
	v_sub_co_ci_u32_e32 v6, vcc_lo, v8, v6, vcc_lo
	s_delay_alu instid0(VALU_DEP_1) | instskip(NEXT) | instid1(VALU_DEP_1)
	v_lshlrev_b64 v[5:6], 3, v[5:6]
	v_add_co_u32 v5, vcc_lo, s5, v5
	s_delay_alu instid0(VALU_DEP_2) | instskip(SKIP_4) | instid1(VALU_DEP_2)
	v_add_co_ci_u32_e32 v6, vcc_lo, s18, v6, vcc_lo
	global_load_b64 v[7:8], v[5:6], off
	s_waitcnt vmcnt(0)
	v_mul_f32_e32 v0, v4, v8
	v_mul_f32_e32 v6, v3, v8
	v_fma_f32 v5, v3, v7, -v0
	s_delay_alu instid0(VALU_DEP_2)
	v_fmac_f32_e32 v6, v4, v7
.LBB19_4:
	v_add_nc_u32_e32 v7, 1, v1
	s_mov_b32 s20, exec_lo
	s_delay_alu instid0(VALU_DEP_1)
	v_cmpx_gt_i32_e64 s3, v7
	s_cbranch_execz .LBB19_8
; %bb.5:
	v_add_co_u32 v0, vcc_lo, v1, -1
	v_add_co_ci_u32_e32 v8, vcc_lo, -1, v2, vcc_lo
	s_ashr_i32 s17, s3, 31
	s_mov_b32 s16, s3
	s_delay_alu instid0(VALU_DEP_2) | instskip(NEXT) | instid1(VALU_DEP_2)
	v_mul_lo_u32 v16, v0, v2
	v_mul_lo_u32 v15, v8, v1
	v_ashrrev_i32_e32 v8, 31, v7
	v_mad_u64_u32 v[9:10], null, v0, v1, 0
	s_add_u32 s2, s8, s10
	v_mul_lo_u32 v0, s7, v7
	s_delay_alu instid0(VALU_DEP_3)
	v_mul_lo_u32 v17, s6, v8
	v_mad_u64_u32 v[11:12], null, s6, v7, 0
	s_addc_u32 s21, s9, s11
	s_lshl_b64 s[22:23], s[16:17], 3
	s_lshl_b64 s[16:17], s[6:7], 3
	s_add_u32 s22, s22, -8
	s_addc_u32 s23, s23, -1
	v_mad_u64_u32 v[13:14], null, s22, v1, s[14:15]
	v_mul_lo_u32 v18, s22, v2
	v_mul_lo_u32 v19, s23, v1
	v_add3_u32 v10, v10, v16, v15
	v_add3_u32 v12, v12, v17, v0
	v_lshlrev_b64 v[15:16], 3, v[7:8]
	s_delay_alu instid0(VALU_DEP_3) | instskip(NEXT) | instid1(VALU_DEP_3)
	v_lshlrev_b64 v[8:9], 2, v[9:10]
	v_lshlrev_b64 v[10:11], 3, v[11:12]
	v_add3_u32 v0, v19, v14, v18
	s_delay_alu instid0(VALU_DEP_4) | instskip(NEXT) | instid1(VALU_DEP_4)
	v_add_co_u32 v12, vcc_lo, v13, v15
	v_and_b32_e32 v8, -8, v8
	s_delay_alu instid0(VALU_DEP_3) | instskip(SKIP_2) | instid1(VALU_DEP_4)
	v_add_co_ci_u32_e32 v0, vcc_lo, v0, v16, vcc_lo
	v_add_co_u32 v10, vcc_lo, s2, v10
	v_add_co_ci_u32_e32 v11, vcc_lo, s21, v11, vcc_lo
	v_sub_co_u32 v12, vcc_lo, v12, v8
	s_delay_alu instid0(VALU_DEP_4) | instskip(NEXT) | instid1(VALU_DEP_4)
	v_sub_co_ci_u32_e32 v0, vcc_lo, v0, v9, vcc_lo
	v_add_co_u32 v8, vcc_lo, v10, 4
	s_delay_alu instid0(VALU_DEP_4) | instskip(NEXT) | instid1(VALU_DEP_4)
	v_add_co_ci_u32_e32 v9, vcc_lo, 0, v11, vcc_lo
	v_add_co_u32 v10, vcc_lo, s12, v12
	s_delay_alu instid0(VALU_DEP_4)
	v_add_co_ci_u32_e32 v11, vcc_lo, s13, v0, vcc_lo
	s_mov_b32 s12, 0
	.p2align	6
.LBB19_6:                               ; =>This Inner Loop Header: Depth=1
	global_load_b64 v[12:13], v[10:11], off
	global_load_b64 v[14:15], v[8:9], off offset:-4
	v_add_nc_u32_e32 v7, 1, v7
	v_add_co_u32 v8, vcc_lo, v8, s16
	v_add_co_ci_u32_e32 v9, vcc_lo, s17, v9, vcc_lo
	v_add_co_u32 v10, vcc_lo, v10, 8
	v_add_co_ci_u32_e32 v11, vcc_lo, 0, v11, vcc_lo
	s_waitcnt vmcnt(0)
	v_mul_f32_e32 v0, v15, v13
	v_mul_f32_e32 v13, v14, v13
	v_cmp_le_i32_e64 s2, s3, v7
	s_delay_alu instid0(VALU_DEP_3) | instskip(NEXT) | instid1(VALU_DEP_3)
	v_fma_f32 v0, v14, v12, -v0
	v_fmac_f32_e32 v13, v15, v12
	s_delay_alu instid0(VALU_DEP_3) | instskip(NEXT) | instid1(VALU_DEP_1)
	s_or_b32 s12, s2, s12
	v_dual_add_f32 v5, v5, v0 :: v_dual_add_f32 v6, v6, v13
	s_and_not1_b32 exec_lo, exec_lo, s12
	s_cbranch_execnz .LBB19_6
; %bb.7:
	s_or_b32 exec_lo, exec_lo, s12
.LBB19_8:
	s_delay_alu instid0(SALU_CYCLE_1)
	s_or_b32 exec_lo, exec_lo, s20
	s_branch .LBB19_17
.LBB19_9:
                                        ; implicit-def: $vgpr6
	s_and_b32 vcc_lo, exec_lo, s2
	s_cbranch_vccz .LBB19_17
; %bb.10:
	v_add_nc_u32_e32 v0, 1, v1
	s_and_not1_b32 vcc_lo, exec_lo, s19
	s_cbranch_vccnz .LBB19_12
; %bb.11:
	s_delay_alu instid0(VALU_DEP_1) | instskip(SKIP_1) | instid1(VALU_DEP_2)
	v_mad_i64_i32 v[5:6], null, v0, v1, 0
	v_lshlrev_b64 v[7:8], 3, v[1:2]
	v_lshlrev_b64 v[5:6], 2, v[5:6]
	s_delay_alu instid0(VALU_DEP_1) | instskip(NEXT) | instid1(VALU_DEP_1)
	v_and_b32_e32 v5, -8, v5
	v_add_co_u32 v5, vcc_lo, s5, v5
	s_delay_alu instid0(VALU_DEP_3) | instskip(NEXT) | instid1(VALU_DEP_2)
	v_add_co_ci_u32_e32 v6, vcc_lo, s18, v6, vcc_lo
	v_add_co_u32 v5, vcc_lo, v5, v7
	s_delay_alu instid0(VALU_DEP_2) | instskip(SKIP_4) | instid1(VALU_DEP_1)
	v_add_co_ci_u32_e32 v6, vcc_lo, v6, v8, vcc_lo
	global_load_b64 v[5:6], v[5:6], off
	s_waitcnt vmcnt(0)
	v_mul_f32_e32 v7, v4, v6
	v_mul_f32_e32 v6, v3, v6
	v_fmac_f32_e32 v6, v4, v5
	s_delay_alu instid0(VALU_DEP_1) | instskip(NEXT) | instid1(VALU_DEP_4)
	v_mov_b32_e32 v4, v6
	v_fma_f32 v3, v3, v5, -v7
.LBB19_12:
	s_mov_b32 s13, 0
	s_mov_b32 s12, exec_lo
	v_cmpx_lt_i32_e32 0, v1
	s_cbranch_execz .LBB19_16
; %bb.13:
	v_mad_u64_u32 v[5:6], null, v0, v1, 0
	s_add_u32 s2, s8, s10
	s_addc_u32 s3, s9, s11
	s_delay_alu instid0(VALU_DEP_1) | instskip(NEXT) | instid1(VALU_DEP_1)
	v_mad_u64_u32 v[7:8], null, v0, v2, v[6:7]
	v_mov_b32_e32 v6, v7
	s_delay_alu instid0(VALU_DEP_1) | instskip(NEXT) | instid1(VALU_DEP_1)
	v_lshlrev_b64 v[5:6], 2, v[5:6]
	v_and_b32_e32 v0, -8, v5
	s_delay_alu instid0(VALU_DEP_1) | instskip(NEXT) | instid1(VALU_DEP_3)
	v_add_co_u32 v5, vcc_lo, s5, v0
	v_add_co_ci_u32_e32 v6, vcc_lo, s18, v6, vcc_lo
	v_mov_b32_e32 v0, v1
	s_add_u32 s5, s2, 4
	s_addc_u32 s8, s3, 0
	s_lshl_b64 s[2:3], s[6:7], 3
	.p2align	6
.LBB19_14:                              ; =>This Inner Loop Header: Depth=1
	global_load_b64 v[7:8], v[5:6], off
	s_add_u32 s6, s5, -4
	s_addc_u32 s7, s8, -1
	v_add_co_u32 v5, vcc_lo, v5, 8
	s_load_b64 s[6:7], s[6:7], 0x0
	v_add_co_ci_u32_e32 v6, vcc_lo, 0, v6, vcc_lo
	s_add_u32 s5, s5, s2
	s_addc_u32 s8, s8, s3
	s_waitcnt vmcnt(0) lgkmcnt(0)
	v_mul_f32_e32 v9, s7, v8
	v_mul_f32_e32 v8, s6, v8
	s_delay_alu instid0(VALU_DEP_1) | instskip(NEXT) | instid1(VALU_DEP_3)
	v_fmac_f32_e32 v8, s7, v7
	v_fma_f32 v9, s6, v7, -v9
	v_add_nc_u32_e32 v0, -1, v0
	s_delay_alu instid0(VALU_DEP_2) | instskip(NEXT) | instid1(VALU_DEP_2)
	v_dual_add_f32 v4, v4, v8 :: v_dual_add_f32 v3, v3, v9
	v_cmp_eq_u32_e32 vcc_lo, 0, v0
	s_or_b32 s13, vcc_lo, s13
	s_delay_alu instid0(SALU_CYCLE_1)
	s_and_not1_b32 exec_lo, exec_lo, s13
	s_cbranch_execnz .LBB19_14
; %bb.15:
	s_or_b32 exec_lo, exec_lo, s13
.LBB19_16:
	s_delay_alu instid0(SALU_CYCLE_1)
	s_or_b32 exec_lo, exec_lo, s12
	s_waitcnt vmcnt(0)
	v_dual_mov_b32 v6, v4 :: v_dual_mov_b32 v5, v3
.LBB19_17:
	s_load_b128 s[0:3], s[0:1], 0x40
	v_lshlrev_b64 v[0:1], 3, v[1:2]
	s_waitcnt lgkmcnt(0)
	s_mul_i32 s3, s4, s3
	s_mul_hi_u32 s5, s4, s2
	s_mul_i32 s2, s4, s2
	s_add_i32 s3, s5, s3
	s_delay_alu instid0(SALU_CYCLE_1) | instskip(NEXT) | instid1(SALU_CYCLE_1)
	s_lshl_b64 s[2:3], s[2:3], 3
	s_add_u32 s0, s0, s2
	s_addc_u32 s1, s1, s3
	v_add_co_u32 v0, vcc_lo, s0, v0
	v_add_co_ci_u32_e32 v1, vcc_lo, s1, v1, vcc_lo
	global_store_b64 v[0:1], v[5:6], off
.LBB19_18:
	s_nop 0
	s_sendmsg sendmsg(MSG_DEALLOC_VGPRS)
	s_endpgm
	.section	.rodata,"a",@progbits
	.p2align	6, 0x0
	.amdhsa_kernel _ZL20rocblas_tpmvt_kernelILi512EPKPK19rocblas_complex_numIfEPKPS1_S6_EvbbiT0_llT1_lllT2_li
		.amdhsa_group_segment_fixed_size 0
		.amdhsa_private_segment_fixed_size 0
		.amdhsa_kernarg_size 344
		.amdhsa_user_sgpr_count 14
		.amdhsa_user_sgpr_dispatch_ptr 0
		.amdhsa_user_sgpr_queue_ptr 0
		.amdhsa_user_sgpr_kernarg_segment_ptr 1
		.amdhsa_user_sgpr_dispatch_id 0
		.amdhsa_user_sgpr_private_segment_size 0
		.amdhsa_wavefront_size32 1
		.amdhsa_uses_dynamic_stack 0
		.amdhsa_enable_private_segment 0
		.amdhsa_system_sgpr_workgroup_id_x 1
		.amdhsa_system_sgpr_workgroup_id_y 0
		.amdhsa_system_sgpr_workgroup_id_z 1
		.amdhsa_system_sgpr_workgroup_info 0
		.amdhsa_system_vgpr_workitem_id 0
		.amdhsa_next_free_vgpr 20
		.amdhsa_next_free_sgpr 25
		.amdhsa_reserve_vcc 1
		.amdhsa_float_round_mode_32 0
		.amdhsa_float_round_mode_16_64 0
		.amdhsa_float_denorm_mode_32 3
		.amdhsa_float_denorm_mode_16_64 3
		.amdhsa_dx10_clamp 1
		.amdhsa_ieee_mode 1
		.amdhsa_fp16_overflow 0
		.amdhsa_workgroup_processor_mode 1
		.amdhsa_memory_ordered 1
		.amdhsa_forward_progress 0
		.amdhsa_shared_vgpr_count 0
		.amdhsa_exception_fp_ieee_invalid_op 0
		.amdhsa_exception_fp_denorm_src 0
		.amdhsa_exception_fp_ieee_div_zero 0
		.amdhsa_exception_fp_ieee_overflow 0
		.amdhsa_exception_fp_ieee_underflow 0
		.amdhsa_exception_fp_ieee_inexact 0
		.amdhsa_exception_int_div_zero 0
	.end_amdhsa_kernel
	.section	.text._ZL20rocblas_tpmvt_kernelILi512EPKPK19rocblas_complex_numIfEPKPS1_S6_EvbbiT0_llT1_lllT2_li,"axG",@progbits,_ZL20rocblas_tpmvt_kernelILi512EPKPK19rocblas_complex_numIfEPKPS1_S6_EvbbiT0_llT1_lllT2_li,comdat
.Lfunc_end19:
	.size	_ZL20rocblas_tpmvt_kernelILi512EPKPK19rocblas_complex_numIfEPKPS1_S6_EvbbiT0_llT1_lllT2_li, .Lfunc_end19-_ZL20rocblas_tpmvt_kernelILi512EPKPK19rocblas_complex_numIfEPKPS1_S6_EvbbiT0_llT1_lllT2_li
                                        ; -- End function
	.section	.AMDGPU.csdata,"",@progbits
; Kernel info:
; codeLenInByte = 1312
; NumSgprs: 27
; NumVgprs: 20
; ScratchSize: 0
; MemoryBound: 0
; FloatMode: 240
; IeeeMode: 1
; LDSByteSize: 0 bytes/workgroup (compile time only)
; SGPRBlocks: 3
; VGPRBlocks: 2
; NumSGPRsForWavesPerEU: 27
; NumVGPRsForWavesPerEU: 20
; Occupancy: 16
; WaveLimiterHint : 1
; COMPUTE_PGM_RSRC2:SCRATCH_EN: 0
; COMPUTE_PGM_RSRC2:USER_SGPR: 14
; COMPUTE_PGM_RSRC2:TRAP_HANDLER: 0
; COMPUTE_PGM_RSRC2:TGID_X_EN: 1
; COMPUTE_PGM_RSRC2:TGID_Y_EN: 0
; COMPUTE_PGM_RSRC2:TGID_Z_EN: 1
; COMPUTE_PGM_RSRC2:TIDIG_COMP_CNT: 0
	.section	.text._ZL20rocblas_tpmvc_kernelILi512EPKPK19rocblas_complex_numIfEPKPS1_S6_EvbbiT0_llT1_lllT2_li,"axG",@progbits,_ZL20rocblas_tpmvc_kernelILi512EPKPK19rocblas_complex_numIfEPKPS1_S6_EvbbiT0_llT1_lllT2_li,comdat
	.globl	_ZL20rocblas_tpmvc_kernelILi512EPKPK19rocblas_complex_numIfEPKPS1_S6_EvbbiT0_llT1_lllT2_li ; -- Begin function _ZL20rocblas_tpmvc_kernelILi512EPKPK19rocblas_complex_numIfEPKPS1_S6_EvbbiT0_llT1_lllT2_li
	.p2align	8
	.type	_ZL20rocblas_tpmvc_kernelILi512EPKPK19rocblas_complex_numIfEPKPS1_S6_EvbbiT0_llT1_lllT2_li,@function
_ZL20rocblas_tpmvc_kernelILi512EPKPK19rocblas_complex_numIfEPKPS1_S6_EvbbiT0_llT1_lllT2_li: ; @_ZL20rocblas_tpmvc_kernelILi512EPKPK19rocblas_complex_numIfEPKPS1_S6_EvbbiT0_llT1_lllT2_li
; %bb.0:
	s_clause 0x1
	s_load_b32 s5, s[0:1], 0x64
	s_load_b64 s[2:3], s[0:1], 0x0
	s_waitcnt lgkmcnt(0)
	s_and_b32 s5, s5, 0xffff
	s_delay_alu instid0(SALU_CYCLE_1) | instskip(SKIP_1) | instid1(VALU_DEP_1)
	v_mad_u64_u32 v[1:2], null, s14, s5, v[0:1]
	s_mov_b32 s5, exec_lo
	v_cmpx_gt_i32_e64 s3, v1
	s_cbranch_execz .LBB20_18
; %bb.1:
	s_clause 0x1
	s_load_b32 s5, s[0:1], 0x0
	s_load_b128 s[8:11], s[0:1], 0x8
	s_mov_b32 s4, s15
	v_ashrrev_i32_e32 v2, 31, v1
	s_waitcnt lgkmcnt(0)
	s_and_b32 s20, s5, 1
	s_bitcmp1_b32 s2, 8
	s_mov_b32 s5, 0
	s_cselect_b32 s2, -1, 0
	s_lshl_b64 s[16:17], s[4:5], 3
	s_xor_b32 s5, s2, -1
	s_add_u32 s6, s8, s16
	s_addc_u32 s7, s9, s17
	s_lshl_b64 s[10:11], s[10:11], 3
	s_load_b64 s[8:9], s[6:7], 0x0
	s_clause 0x1
	s_load_b128 s[12:15], s[0:1], 0x20
	s_load_b64 s[6:7], s[0:1], 0x30
	s_waitcnt lgkmcnt(0)
	s_add_u32 s18, s8, s10
	s_addc_u32 s19, s9, s11
	s_add_u32 s12, s12, s16
	s_addc_u32 s13, s13, s17
	v_mul_lo_u32 v0, v1, s7
	s_load_b64 s[12:13], s[12:13], 0x0
	v_mul_lo_u32 v5, v2, s6
	v_mad_u64_u32 v[3:4], null, v1, s6, 0
	s_lshl_b64 s[14:15], s[14:15], 3
	s_delay_alu instid0(VALU_DEP_1) | instskip(SKIP_1) | instid1(VALU_DEP_2)
	v_add3_u32 v4, v4, v0, v5
	v_cndmask_b32_e64 v0, 0, 1, s5
	v_lshlrev_b64 v[3:4], 3, v[3:4]
	s_waitcnt lgkmcnt(0)
	s_add_u32 s2, s12, s14
	s_addc_u32 s16, s13, s15
	s_delay_alu instid0(VALU_DEP_1) | instskip(NEXT) | instid1(VALU_DEP_2)
	v_add_co_u32 v3, vcc_lo, s2, v3
	v_add_co_ci_u32_e32 v4, vcc_lo, s16, v4, vcc_lo
	v_cmp_ne_u32_e32 vcc_lo, 1, v0
	s_cmp_eq_u32 s20, 0
	s_mov_b32 s2, -1
	global_load_b64 v[3:4], v[3:4], off
	s_cbranch_scc0 .LBB20_9
; %bb.2:
	s_waitcnt vmcnt(0)
	v_dual_mov_b32 v5, v3 :: v_dual_mov_b32 v6, v4
	s_and_b32 vcc_lo, exec_lo, vcc_lo
	s_cbranch_vccnz .LBB20_4
; %bb.3:
	v_add_co_u32 v0, vcc_lo, v1, -1
	v_add_co_ci_u32_e32 v5, vcc_lo, -1, v2, vcc_lo
	s_delay_alu instid0(VALU_DEP_2) | instskip(NEXT) | instid1(VALU_DEP_2)
	v_mul_lo_u32 v8, v0, v2
	v_mul_lo_u32 v7, v5, v1
	v_mad_u64_u32 v[5:6], null, v0, v1, 0
	s_delay_alu instid0(VALU_DEP_1) | instskip(SKIP_1) | instid1(VALU_DEP_2)
	v_add3_u32 v6, v6, v8, v7
	v_mad_i64_i32 v[7:8], null, v1, s3, 0
	v_lshrrev_b64 v[5:6], 1, v[5:6]
	s_delay_alu instid0(VALU_DEP_1) | instskip(NEXT) | instid1(VALU_DEP_2)
	v_sub_co_u32 v5, vcc_lo, v7, v5
	v_sub_co_ci_u32_e32 v6, vcc_lo, v8, v6, vcc_lo
	s_delay_alu instid0(VALU_DEP_1) | instskip(NEXT) | instid1(VALU_DEP_1)
	v_lshlrev_b64 v[5:6], 3, v[5:6]
	v_add_co_u32 v5, vcc_lo, s18, v5
	s_delay_alu instid0(VALU_DEP_2) | instskip(SKIP_4) | instid1(VALU_DEP_2)
	v_add_co_ci_u32_e32 v6, vcc_lo, s19, v6, vcc_lo
	global_load_b64 v[6:7], v[5:6], off
	s_waitcnt vmcnt(0)
	v_mul_f32_e32 v5, v4, v7
	v_mul_f32_e32 v0, v3, v7
	v_fmac_f32_e32 v5, v3, v6
	s_delay_alu instid0(VALU_DEP_2)
	v_fma_f32 v6, v4, v6, -v0
.LBB20_4:
	v_add_nc_u32_e32 v7, 1, v1
	s_mov_b32 s20, exec_lo
	s_delay_alu instid0(VALU_DEP_1)
	v_cmpx_gt_i32_e64 s3, v7
	s_cbranch_execz .LBB20_8
; %bb.5:
	v_add_co_u32 v0, vcc_lo, v1, -1
	v_add_co_ci_u32_e32 v8, vcc_lo, -1, v2, vcc_lo
	s_ashr_i32 s17, s3, 31
	s_delay_alu instid0(VALU_DEP_2) | instskip(SKIP_1) | instid1(VALU_DEP_3)
	v_mul_lo_u32 v11, v0, v2
	v_mad_u64_u32 v[9:10], null, v0, v1, 0
	v_mul_lo_u32 v8, v8, v1
	s_mov_b32 s16, s3
	v_mul_lo_u32 v18, s7, v7
	s_lshl_b64 s[16:17], s[16:17], 3
	v_mad_u64_u32 v[15:16], null, s6, v7, 0
	s_add_u32 s2, s16, -8
	s_addc_u32 s16, s17, -1
	s_delay_alu instid0(VALU_DEP_3) | instskip(SKIP_4) | instid1(VALU_DEP_4)
	v_add3_u32 v10, v10, v11, v8
	v_ashrrev_i32_e32 v8, 31, v7
	v_mad_u64_u32 v[11:12], null, s2, v1, s[10:11]
	v_mul_lo_u32 v0, s2, v2
	v_mul_lo_u32 v17, s16, v1
	v_lshlrev_b64 v[13:14], 3, v[7:8]
	v_lshlrev_b64 v[9:10], 2, v[9:10]
	v_mul_lo_u32 v8, s6, v8
	s_add_u32 s2, s12, s14
	s_addc_u32 s16, s13, s15
	s_mov_b32 s21, 0
	v_add_co_u32 v11, vcc_lo, v11, v13
	v_add3_u32 v0, v17, v12, v0
	v_and_b32_e32 v9, -8, v9
	s_delay_alu instid0(VALU_DEP_4) | instskip(NEXT) | instid1(VALU_DEP_3)
	v_add3_u32 v16, v16, v8, v18
	v_add_co_ci_u32_e32 v0, vcc_lo, v0, v14, vcc_lo
	s_delay_alu instid0(VALU_DEP_3) | instskip(NEXT) | instid1(VALU_DEP_3)
	v_sub_co_u32 v11, vcc_lo, v11, v9
	v_lshlrev_b64 v[8:9], 3, v[15:16]
	s_delay_alu instid0(VALU_DEP_3) | instskip(NEXT) | instid1(VALU_DEP_3)
	v_sub_co_ci_u32_e32 v0, vcc_lo, v0, v10, vcc_lo
	v_add_co_u32 v10, vcc_lo, s8, v11
	s_delay_alu instid0(VALU_DEP_2) | instskip(NEXT) | instid1(VALU_DEP_4)
	v_add_co_ci_u32_e32 v0, vcc_lo, s9, v0, vcc_lo
	v_add_co_u32 v11, vcc_lo, s2, v8
	v_add_co_ci_u32_e32 v12, vcc_lo, s16, v9, vcc_lo
	s_delay_alu instid0(VALU_DEP_4) | instskip(NEXT) | instid1(VALU_DEP_4)
	v_add_co_u32 v8, vcc_lo, v10, 4
	v_add_co_ci_u32_e32 v9, vcc_lo, 0, v0, vcc_lo
	s_delay_alu instid0(VALU_DEP_4) | instskip(NEXT) | instid1(VALU_DEP_4)
	v_add_co_u32 v10, vcc_lo, v11, 4
	v_add_co_ci_u32_e32 v11, vcc_lo, 0, v12, vcc_lo
	s_lshl_b64 s[16:17], s[6:7], 3
	.p2align	6
.LBB20_6:                               ; =>This Inner Loop Header: Depth=1
	global_load_b64 v[12:13], v[8:9], off offset:-4
	global_load_b64 v[14:15], v[10:11], off offset:-4
	v_add_co_u32 v8, vcc_lo, v8, 8
	v_add_co_ci_u32_e32 v9, vcc_lo, 0, v9, vcc_lo
	v_add_co_u32 v10, vcc_lo, v10, s16
	v_add_co_ci_u32_e32 v11, vcc_lo, s17, v11, vcc_lo
	s_waitcnt vmcnt(0)
	v_mul_f32_e32 v0, v13, v15
	v_mul_f32_e32 v13, v13, v14
	s_delay_alu instid0(VALU_DEP_2) | instskip(NEXT) | instid1(VALU_DEP_2)
	v_dual_fmac_f32 v0, v12, v14 :: v_dual_add_nc_u32 v7, 1, v7
	v_fma_f32 v12, v12, v15, -v13
	s_delay_alu instid0(VALU_DEP_2) | instskip(NEXT) | instid1(VALU_DEP_3)
	v_cmp_le_i32_e64 s2, s3, v7
	v_add_f32_e32 v5, v5, v0
	s_delay_alu instid0(VALU_DEP_3) | instskip(NEXT) | instid1(VALU_DEP_3)
	v_add_f32_e32 v6, v6, v12
	s_or_b32 s21, s2, s21
	s_delay_alu instid0(SALU_CYCLE_1)
	s_and_not1_b32 exec_lo, exec_lo, s21
	s_cbranch_execnz .LBB20_6
; %bb.7:
	s_or_b32 exec_lo, exec_lo, s21
.LBB20_8:
	s_delay_alu instid0(SALU_CYCLE_1)
	s_or_b32 exec_lo, exec_lo, s20
	s_branch .LBB20_17
.LBB20_9:
                                        ; implicit-def: $vgpr6
	s_and_b32 vcc_lo, exec_lo, s2
	s_cbranch_vccz .LBB20_17
; %bb.10:
	v_add_nc_u32_e32 v0, 1, v1
	s_and_not1_b32 vcc_lo, exec_lo, s5
	s_cbranch_vccnz .LBB20_12
; %bb.11:
	s_delay_alu instid0(VALU_DEP_1) | instskip(SKIP_1) | instid1(VALU_DEP_2)
	v_mad_i64_i32 v[5:6], null, v0, v1, 0
	v_lshlrev_b64 v[7:8], 3, v[1:2]
	v_lshlrev_b64 v[5:6], 2, v[5:6]
	s_delay_alu instid0(VALU_DEP_1) | instskip(NEXT) | instid1(VALU_DEP_1)
	v_and_b32_e32 v5, -8, v5
	v_add_co_u32 v5, vcc_lo, s18, v5
	s_delay_alu instid0(VALU_DEP_3) | instskip(NEXT) | instid1(VALU_DEP_2)
	v_add_co_ci_u32_e32 v6, vcc_lo, s19, v6, vcc_lo
	v_add_co_u32 v5, vcc_lo, v5, v7
	s_delay_alu instid0(VALU_DEP_2) | instskip(SKIP_4) | instid1(VALU_DEP_2)
	v_add_co_ci_u32_e32 v6, vcc_lo, v6, v8, vcc_lo
	global_load_b64 v[5:6], v[5:6], off
	s_waitcnt vmcnt(0)
	v_mul_f32_e32 v7, v4, v6
	v_mul_f32_e32 v6, v3, v6
	v_fmac_f32_e32 v7, v3, v5
	s_delay_alu instid0(VALU_DEP_2) | instskip(NEXT) | instid1(VALU_DEP_2)
	v_fma_f32 v4, v4, v5, -v6
	v_mov_b32_e32 v3, v7
.LBB20_12:
	s_mov_b32 s16, 0
	s_mov_b32 s5, exec_lo
	v_cmpx_lt_i32_e32 0, v1
	s_cbranch_execz .LBB20_16
; %bb.13:
	v_mad_u64_u32 v[5:6], null, v0, v1, 0
	s_add_u32 s2, s8, s10
	s_addc_u32 s3, s9, s11
	s_add_u32 s8, s12, s14
	s_delay_alu instid0(VALU_DEP_1) | instskip(NEXT) | instid1(VALU_DEP_1)
	v_mad_u64_u32 v[7:8], null, v0, v2, v[6:7]
	v_mov_b32_e32 v6, v7
	s_delay_alu instid0(VALU_DEP_1) | instskip(NEXT) | instid1(VALU_DEP_1)
	v_lshlrev_b64 v[5:6], 2, v[5:6]
	v_and_b32_e32 v0, -8, v5
	s_delay_alu instid0(VALU_DEP_1) | instskip(NEXT) | instid1(VALU_DEP_3)
	v_add_co_u32 v0, vcc_lo, s2, v0
	v_add_co_ci_u32_e32 v6, vcc_lo, s3, v6, vcc_lo
	s_addc_u32 s2, s13, s15
	s_delay_alu instid0(VALU_DEP_2) | instskip(NEXT) | instid1(VALU_DEP_2)
	v_add_co_u32 v5, vcc_lo, v0, 4
	v_add_co_ci_u32_e32 v6, vcc_lo, 0, v6, vcc_lo
	v_mov_b32_e32 v0, v1
	s_add_u32 s8, s8, 4
	s_addc_u32 s9, s2, 0
	s_lshl_b64 s[2:3], s[6:7], 3
	.p2align	6
.LBB20_14:                              ; =>This Inner Loop Header: Depth=1
	global_load_b64 v[7:8], v[5:6], off offset:-4
	s_add_u32 s6, s8, -4
	s_addc_u32 s7, s9, -1
	v_add_co_u32 v5, vcc_lo, v5, 8
	s_load_b64 s[6:7], s[6:7], 0x0
	v_add_co_ci_u32_e32 v6, vcc_lo, 0, v6, vcc_lo
	s_add_u32 s8, s8, s2
	s_addc_u32 s9, s9, s3
	s_waitcnt vmcnt(0) lgkmcnt(0)
	v_mul_f32_e32 v9, s7, v8
	s_delay_alu instid0(VALU_DEP_1) | instskip(SKIP_1) | instid1(VALU_DEP_2)
	v_dual_fmac_f32 v9, s6, v7 :: v_dual_add_nc_u32 v0, -1, v0
	v_mul_f32_e32 v8, s6, v8
	v_cmp_eq_u32_e32 vcc_lo, 0, v0
	s_delay_alu instid0(VALU_DEP_3) | instskip(NEXT) | instid1(VALU_DEP_3)
	v_add_f32_e32 v3, v3, v9
	v_fma_f32 v7, v7, s7, -v8
	s_or_b32 s16, vcc_lo, s16
	s_delay_alu instid0(VALU_DEP_1)
	v_add_f32_e32 v4, v4, v7
	s_and_not1_b32 exec_lo, exec_lo, s16
	s_cbranch_execnz .LBB20_14
; %bb.15:
	s_or_b32 exec_lo, exec_lo, s16
.LBB20_16:
	s_delay_alu instid0(SALU_CYCLE_1)
	s_or_b32 exec_lo, exec_lo, s5
	s_waitcnt vmcnt(0)
	v_dual_mov_b32 v6, v4 :: v_dual_mov_b32 v5, v3
.LBB20_17:
	s_load_b128 s[0:3], s[0:1], 0x40
	v_lshlrev_b64 v[0:1], 3, v[1:2]
	s_waitcnt lgkmcnt(0)
	s_mul_i32 s3, s4, s3
	s_mul_hi_u32 s5, s4, s2
	s_mul_i32 s2, s4, s2
	s_add_i32 s3, s5, s3
	s_delay_alu instid0(SALU_CYCLE_1) | instskip(NEXT) | instid1(SALU_CYCLE_1)
	s_lshl_b64 s[2:3], s[2:3], 3
	s_add_u32 s0, s0, s2
	s_addc_u32 s1, s1, s3
	v_add_co_u32 v0, vcc_lo, s0, v0
	v_add_co_ci_u32_e32 v1, vcc_lo, s1, v1, vcc_lo
	global_store_b64 v[0:1], v[5:6], off
.LBB20_18:
	s_nop 0
	s_sendmsg sendmsg(MSG_DEALLOC_VGPRS)
	s_endpgm
	.section	.rodata,"a",@progbits
	.p2align	6, 0x0
	.amdhsa_kernel _ZL20rocblas_tpmvc_kernelILi512EPKPK19rocblas_complex_numIfEPKPS1_S6_EvbbiT0_llT1_lllT2_li
		.amdhsa_group_segment_fixed_size 0
		.amdhsa_private_segment_fixed_size 0
		.amdhsa_kernarg_size 344
		.amdhsa_user_sgpr_count 14
		.amdhsa_user_sgpr_dispatch_ptr 0
		.amdhsa_user_sgpr_queue_ptr 0
		.amdhsa_user_sgpr_kernarg_segment_ptr 1
		.amdhsa_user_sgpr_dispatch_id 0
		.amdhsa_user_sgpr_private_segment_size 0
		.amdhsa_wavefront_size32 1
		.amdhsa_uses_dynamic_stack 0
		.amdhsa_enable_private_segment 0
		.amdhsa_system_sgpr_workgroup_id_x 1
		.amdhsa_system_sgpr_workgroup_id_y 0
		.amdhsa_system_sgpr_workgroup_id_z 1
		.amdhsa_system_sgpr_workgroup_info 0
		.amdhsa_system_vgpr_workitem_id 0
		.amdhsa_next_free_vgpr 19
		.amdhsa_next_free_sgpr 22
		.amdhsa_reserve_vcc 1
		.amdhsa_float_round_mode_32 0
		.amdhsa_float_round_mode_16_64 0
		.amdhsa_float_denorm_mode_32 3
		.amdhsa_float_denorm_mode_16_64 3
		.amdhsa_dx10_clamp 1
		.amdhsa_ieee_mode 1
		.amdhsa_fp16_overflow 0
		.amdhsa_workgroup_processor_mode 1
		.amdhsa_memory_ordered 1
		.amdhsa_forward_progress 0
		.amdhsa_shared_vgpr_count 0
		.amdhsa_exception_fp_ieee_invalid_op 0
		.amdhsa_exception_fp_denorm_src 0
		.amdhsa_exception_fp_ieee_div_zero 0
		.amdhsa_exception_fp_ieee_overflow 0
		.amdhsa_exception_fp_ieee_underflow 0
		.amdhsa_exception_fp_ieee_inexact 0
		.amdhsa_exception_int_div_zero 0
	.end_amdhsa_kernel
	.section	.text._ZL20rocblas_tpmvc_kernelILi512EPKPK19rocblas_complex_numIfEPKPS1_S6_EvbbiT0_llT1_lllT2_li,"axG",@progbits,_ZL20rocblas_tpmvc_kernelILi512EPKPK19rocblas_complex_numIfEPKPS1_S6_EvbbiT0_llT1_lllT2_li,comdat
.Lfunc_end20:
	.size	_ZL20rocblas_tpmvc_kernelILi512EPKPK19rocblas_complex_numIfEPKPS1_S6_EvbbiT0_llT1_lllT2_li, .Lfunc_end20-_ZL20rocblas_tpmvc_kernelILi512EPKPK19rocblas_complex_numIfEPKPS1_S6_EvbbiT0_llT1_lllT2_li
                                        ; -- End function
	.section	.AMDGPU.csdata,"",@progbits
; Kernel info:
; codeLenInByte = 1356
; NumSgprs: 24
; NumVgprs: 19
; ScratchSize: 0
; MemoryBound: 0
; FloatMode: 240
; IeeeMode: 1
; LDSByteSize: 0 bytes/workgroup (compile time only)
; SGPRBlocks: 2
; VGPRBlocks: 2
; NumSGPRsForWavesPerEU: 24
; NumVGPRsForWavesPerEU: 19
; Occupancy: 16
; WaveLimiterHint : 1
; COMPUTE_PGM_RSRC2:SCRATCH_EN: 0
; COMPUTE_PGM_RSRC2:USER_SGPR: 14
; COMPUTE_PGM_RSRC2:TRAP_HANDLER: 0
; COMPUTE_PGM_RSRC2:TGID_X_EN: 1
; COMPUTE_PGM_RSRC2:TGID_Y_EN: 0
; COMPUTE_PGM_RSRC2:TGID_Z_EN: 1
; COMPUTE_PGM_RSRC2:TIDIG_COMP_CNT: 0
	.section	.text._ZL20rocblas_tpmvn_kernelILi512EPKPK19rocblas_complex_numIdEPKPS1_S6_EvbbiT0_llT1_lllT2_li,"axG",@progbits,_ZL20rocblas_tpmvn_kernelILi512EPKPK19rocblas_complex_numIdEPKPS1_S6_EvbbiT0_llT1_lllT2_li,comdat
	.globl	_ZL20rocblas_tpmvn_kernelILi512EPKPK19rocblas_complex_numIdEPKPS1_S6_EvbbiT0_llT1_lllT2_li ; -- Begin function _ZL20rocblas_tpmvn_kernelILi512EPKPK19rocblas_complex_numIdEPKPS1_S6_EvbbiT0_llT1_lllT2_li
	.p2align	8
	.type	_ZL20rocblas_tpmvn_kernelILi512EPKPK19rocblas_complex_numIdEPKPS1_S6_EvbbiT0_llT1_lllT2_li,@function
_ZL20rocblas_tpmvn_kernelILi512EPKPK19rocblas_complex_numIdEPKPS1_S6_EvbbiT0_llT1_lllT2_li: ; @_ZL20rocblas_tpmvn_kernelILi512EPKPK19rocblas_complex_numIdEPKPS1_S6_EvbbiT0_llT1_lllT2_li
; %bb.0:
	s_clause 0x1
	s_load_b32 s5, s[0:1], 0x64
	s_load_b64 s[2:3], s[0:1], 0x0
	s_waitcnt lgkmcnt(0)
	s_and_b32 s5, s5, 0xffff
	s_delay_alu instid0(SALU_CYCLE_1) | instskip(SKIP_1) | instid1(VALU_DEP_1)
	v_mad_u64_u32 v[8:9], null, s14, s5, v[0:1]
	s_mov_b32 s5, exec_lo
	v_cmpx_gt_i32_e64 s3, v8
	s_cbranch_execz .LBB21_18
; %bb.1:
	s_clause 0x1
	s_load_b32 s5, s[0:1], 0x0
	s_load_b128 s[8:11], s[0:1], 0x8
	s_mov_b32 s4, s15
	v_ashrrev_i32_e32 v9, 31, v8
	s_waitcnt lgkmcnt(0)
	s_and_b32 s21, s5, 1
	s_bitcmp1_b32 s2, 8
	s_mov_b32 s5, 0
	s_cselect_b32 s2, -1, 0
	s_lshl_b64 s[22:23], s[4:5], 3
	s_xor_b32 s20, s2, -1
	s_add_u32 s6, s8, s22
	s_addc_u32 s7, s9, s23
	s_lshl_b64 s[14:15], s[10:11], 4
	s_load_b64 s[12:13], s[6:7], 0x0
	s_clause 0x1
	s_load_b128 s[16:19], s[0:1], 0x20
	s_load_b64 s[6:7], s[0:1], 0x30
	v_cndmask_b32_e64 v4, 0, 1, s20
	s_waitcnt lgkmcnt(0)
	s_add_u32 s2, s12, s14
	s_addc_u32 s5, s13, s15
	s_add_u32 s8, s16, s22
	s_addc_u32 s9, s17, s23
	v_mul_lo_u32 v2, v8, s7
	s_load_b64 s[8:9], s[8:9], 0x0
	v_mul_lo_u32 v3, v9, s6
	v_mad_u64_u32 v[0:1], null, v8, s6, 0
	s_lshl_b64 s[10:11], s[18:19], 4
	s_delay_alu instid0(VALU_DEP_1) | instskip(NEXT) | instid1(VALU_DEP_1)
	v_add3_u32 v1, v1, v2, v3
	v_lshlrev_b64 v[0:1], 4, v[0:1]
	s_waitcnt lgkmcnt(0)
	s_add_u32 s16, s8, s10
	s_addc_u32 s17, s9, s11
	s_delay_alu instid0(VALU_DEP_1) | instskip(NEXT) | instid1(VALU_DEP_2)
	v_add_co_u32 v0, vcc_lo, s16, v0
	v_add_co_ci_u32_e32 v1, vcc_lo, s17, v1, vcc_lo
	v_cmp_ne_u32_e32 vcc_lo, 1, v4
	s_cmp_eq_u32 s21, 0
	s_mov_b32 s21, -1
	global_load_b128 v[0:3], v[0:1], off
	s_cbranch_scc0 .LBB21_9
; %bb.2:
	s_waitcnt vmcnt(0)
	v_dual_mov_b32 v5, v1 :: v_dual_mov_b32 v4, v0
	v_dual_mov_b32 v7, v3 :: v_dual_mov_b32 v6, v2
	s_and_b32 vcc_lo, exec_lo, vcc_lo
	s_cbranch_vccnz .LBB21_4
; %bb.3:
	v_add_co_u32 v6, vcc_lo, v8, -1
	v_add_co_ci_u32_e32 v4, vcc_lo, -1, v9, vcc_lo
	s_delay_alu instid0(VALU_DEP_2) | instskip(NEXT) | instid1(VALU_DEP_2)
	v_mul_lo_u32 v10, v6, v9
	v_mul_lo_u32 v7, v4, v8
	v_mad_u64_u32 v[4:5], null, v6, v8, 0
	s_delay_alu instid0(VALU_DEP_1) | instskip(SKIP_1) | instid1(VALU_DEP_2)
	v_add3_u32 v5, v5, v10, v7
	v_mad_i64_i32 v[6:7], null, v8, s3, 0
	v_lshrrev_b64 v[4:5], 1, v[4:5]
	s_delay_alu instid0(VALU_DEP_1) | instskip(NEXT) | instid1(VALU_DEP_2)
	v_sub_co_u32 v4, vcc_lo, v6, v4
	v_sub_co_ci_u32_e32 v5, vcc_lo, v7, v5, vcc_lo
	s_delay_alu instid0(VALU_DEP_1) | instskip(NEXT) | instid1(VALU_DEP_1)
	v_lshlrev_b64 v[4:5], 4, v[4:5]
	v_add_co_u32 v4, vcc_lo, s2, v4
	s_delay_alu instid0(VALU_DEP_2) | instskip(SKIP_4) | instid1(VALU_DEP_2)
	v_add_co_ci_u32_e32 v5, vcc_lo, s5, v5, vcc_lo
	global_load_b128 v[10:13], v[4:5], off
	s_waitcnt vmcnt(0)
	v_mul_f64 v[4:5], v[2:3], v[12:13]
	v_mul_f64 v[6:7], v[0:1], v[12:13]
	v_fma_f64 v[4:5], v[0:1], v[10:11], -v[4:5]
	s_delay_alu instid0(VALU_DEP_2)
	v_fma_f64 v[6:7], v[2:3], v[10:11], v[6:7]
.LBB21_4:
	s_mov_b32 s21, 0
	s_mov_b32 s22, exec_lo
	v_cmpx_lt_i32_e32 0, v8
	s_cbranch_execz .LBB21_8
; %bb.5:
	v_lshlrev_b64 v[10:11], 4, v[8:9]
	s_ashr_i32 s17, s3, 31
	s_add_u32 s12, s12, s14
	s_addc_u32 s13, s13, s15
	s_mov_b32 s16, s3
	s_mov_b64 s[14:15], 0
	v_add_co_u32 v10, vcc_lo, s12, v10
	v_add_co_ci_u32_e32 v11, vcc_lo, s13, v11, vcc_lo
	s_lshl_b64 s[12:13], s[16:17], 4
	s_delay_alu instid0(VALU_DEP_2)
	v_add_co_u32 v10, vcc_lo, v10, 8
	s_add_u32 s23, s12, -16
	s_addc_u32 s24, s13, -1
	v_add_co_ci_u32_e32 v11, vcc_lo, 0, v11, vcc_lo
	s_add_u32 s12, s8, s10
	s_addc_u32 s13, s9, s11
	s_add_u32 s25, s12, 8
	s_addc_u32 s26, s13, 0
	s_lshl_b64 s[12:13], s[6:7], 4
	s_mov_b32 s27, 0
	s_mov_b64 s[18:19], 0
	s_mov_b64 s[16:17], 0
	s_set_inst_prefetch_distance 0x1
	.p2align	6
.LBB21_6:                               ; =>This Inner Loop Header: Depth=1
	s_lshl_b64 s[28:29], s[14:15], 3
	s_delay_alu instid0(SALU_CYCLE_1) | instskip(NEXT) | instid1(SALU_CYCLE_1)
	s_and_b32 s28, s28, -16
	v_sub_co_u32 v12, vcc_lo, v10, s28
	v_subrev_co_ci_u32_e32 v13, vcc_lo, s29, v11, vcc_lo
	s_add_u32 s28, s25, -8
	s_addc_u32 s29, s26, -1
	v_add_co_u32 v10, vcc_lo, v10, s23
	global_load_b128 v[12:15], v[12:13], off offset:-8
	s_load_b128 s[28:31], s[28:29], 0x0
	s_add_u32 s16, s16, 1
	s_addc_u32 s17, s17, 0
	v_add_co_ci_u32_e32 v11, vcc_lo, s24, v11, vcc_lo
	v_cmp_eq_u32_e32 vcc_lo, s16, v8
	s_waitcnt vmcnt(0) lgkmcnt(0)
	v_mul_f64 v[16:17], s[30:31], v[14:15]
	v_mul_f64 v[14:15], s[28:29], v[14:15]
	s_delay_alu instid0(VALU_DEP_2) | instskip(NEXT) | instid1(VALU_DEP_2)
	v_fma_f64 v[16:17], s[28:29], v[12:13], -v[16:17]
	v_fma_f64 v[12:13], s[30:31], v[12:13], v[14:15]
	s_add_u32 s28, s18, 2
	s_addc_u32 s29, s19, 0
	s_add_u32 s14, s14, s18
	s_addc_u32 s15, s15, s19
	;; [unrolled: 2-line block ×3, first 2 shown]
	s_or_b32 s27, vcc_lo, s27
	s_mov_b64 s[18:19], s[28:29]
	s_delay_alu instid0(VALU_DEP_2) | instskip(NEXT) | instid1(VALU_DEP_2)
	v_add_f64 v[4:5], v[4:5], v[16:17]
	v_add_f64 v[6:7], v[6:7], v[12:13]
	s_and_not1_b32 exec_lo, exec_lo, s27
	s_cbranch_execnz .LBB21_6
; %bb.7:
	s_set_inst_prefetch_distance 0x2
	s_or_b32 exec_lo, exec_lo, s27
.LBB21_8:
	s_delay_alu instid0(SALU_CYCLE_1) | instskip(NEXT) | instid1(SALU_CYCLE_1)
	s_or_b32 exec_lo, exec_lo, s22
	s_and_b32 vcc_lo, exec_lo, s21
	s_cbranch_vccnz .LBB21_10
	s_branch .LBB21_17
.LBB21_9:
                                        ; implicit-def: $vgpr6_vgpr7
	s_and_b32 vcc_lo, exec_lo, s21
	s_cbranch_vccz .LBB21_17
.LBB21_10:
	v_add_nc_u32_e32 v4, 1, v8
	s_and_not1_b32 vcc_lo, exec_lo, s20
	s_cbranch_vccnz .LBB21_12
; %bb.11:
	s_delay_alu instid0(VALU_DEP_1) | instskip(SKIP_1) | instid1(VALU_DEP_2)
	v_mad_i64_i32 v[5:6], null, v4, v8, 0
	v_lshlrev_b64 v[10:11], 4, v[8:9]
	v_lshlrev_b64 v[5:6], 3, v[5:6]
	s_delay_alu instid0(VALU_DEP_1) | instskip(NEXT) | instid1(VALU_DEP_1)
	v_and_b32_e32 v5, -16, v5
	v_add_co_u32 v5, vcc_lo, s2, v5
	s_delay_alu instid0(VALU_DEP_3) | instskip(NEXT) | instid1(VALU_DEP_2)
	v_add_co_ci_u32_e32 v6, vcc_lo, s5, v6, vcc_lo
	v_add_co_u32 v5, vcc_lo, v5, v10
	s_delay_alu instid0(VALU_DEP_2) | instskip(SKIP_4) | instid1(VALU_DEP_2)
	v_add_co_ci_u32_e32 v6, vcc_lo, v6, v11, vcc_lo
	global_load_b128 v[10:13], v[5:6], off
	s_waitcnt vmcnt(0)
	v_mul_f64 v[5:6], v[2:3], v[12:13]
	v_mul_f64 v[12:13], v[0:1], v[12:13]
	v_fma_f64 v[0:1], v[0:1], v[10:11], -v[5:6]
	s_delay_alu instid0(VALU_DEP_2)
	v_fma_f64 v[2:3], v[2:3], v[10:11], v[12:13]
.LBB21_12:
	s_mov_b32 s12, exec_lo
	s_delay_alu instid0(VALU_DEP_1)
	v_cmpx_gt_i32_e64 s3, v4
	s_cbranch_execz .LBB21_16
; %bb.13:
	v_ashrrev_i32_e32 v5, 31, v4
	v_mul_lo_u32 v10, s7, v4
	v_mad_u64_u32 v[6:7], null, s6, v4, 0
	v_lshlrev_b64 v[12:13], 4, v[8:9]
	s_delay_alu instid0(VALU_DEP_4) | instskip(SKIP_3) | instid1(VALU_DEP_1)
	v_mul_lo_u32 v11, s6, v5
	s_add_u32 s8, s8, s10
	s_addc_u32 s9, s9, s11
	s_lshl_b64 s[6:7], s[6:7], 4
	v_add3_u32 v7, v7, v11, v10
	v_add_nc_u32_e32 v10, 2, v8
	s_delay_alu instid0(VALU_DEP_2) | instskip(NEXT) | instid1(VALU_DEP_2)
	v_lshlrev_b64 v[6:7], 4, v[6:7]
	v_ashrrev_i32_e32 v11, 31, v10
	s_delay_alu instid0(VALU_DEP_2) | instskip(NEXT) | instid1(VALU_DEP_3)
	v_add_co_u32 v6, vcc_lo, s8, v6
	v_add_co_ci_u32_e32 v7, vcc_lo, s9, v7, vcc_lo
	v_add_co_u32 v12, vcc_lo, s2, v12
	v_add_co_ci_u32_e32 v13, vcc_lo, s5, v13, vcc_lo
	s_delay_alu instid0(VALU_DEP_4) | instskip(NEXT) | instid1(VALU_DEP_4)
	v_add_co_u32 v6, vcc_lo, v6, 8
	v_add_co_ci_u32_e32 v7, vcc_lo, 0, v7, vcc_lo
	s_mov_b32 s5, 0
	s_set_inst_prefetch_distance 0x1
	.p2align	6
.LBB21_14:                              ; =>This Inner Loop Header: Depth=1
	v_mul_lo_u32 v16, v11, v4
	v_mul_lo_u32 v17, v10, v5
	v_mad_u64_u32 v[14:15], null, v10, v4, 0
	s_delay_alu instid0(VALU_DEP_1) | instskip(NEXT) | instid1(VALU_DEP_1)
	v_add3_u32 v15, v15, v17, v16
	v_lshlrev_b64 v[14:15], 3, v[14:15]
	s_delay_alu instid0(VALU_DEP_1) | instskip(NEXT) | instid1(VALU_DEP_1)
	v_and_b32_e32 v14, -16, v14
	v_add_co_u32 v18, vcc_lo, v12, v14
	s_delay_alu instid0(VALU_DEP_3)
	v_add_co_ci_u32_e32 v19, vcc_lo, v13, v15, vcc_lo
	global_load_b128 v[14:17], v[6:7], off offset:-8
	global_load_b128 v[18:21], v[18:19], off
	v_add_co_u32 v4, vcc_lo, v4, 1
	v_add_co_ci_u32_e32 v5, vcc_lo, 0, v5, vcc_lo
	v_add_co_u32 v10, vcc_lo, v10, 1
	v_add_co_ci_u32_e32 v11, vcc_lo, 0, v11, vcc_lo
	v_add_co_u32 v6, vcc_lo, v6, s6
	v_cmp_le_i32_e64 s2, s3, v4
	v_add_co_ci_u32_e32 v7, vcc_lo, s7, v7, vcc_lo
	s_delay_alu instid0(VALU_DEP_2) | instskip(SKIP_3) | instid1(VALU_DEP_2)
	s_or_b32 s5, s2, s5
	s_waitcnt vmcnt(0)
	v_mul_f64 v[22:23], v[16:17], v[20:21]
	v_mul_f64 v[20:21], v[14:15], v[20:21]
	v_fma_f64 v[14:15], v[14:15], v[18:19], -v[22:23]
	s_delay_alu instid0(VALU_DEP_2) | instskip(NEXT) | instid1(VALU_DEP_2)
	v_fma_f64 v[16:17], v[16:17], v[18:19], v[20:21]
	v_add_f64 v[0:1], v[0:1], v[14:15]
	s_delay_alu instid0(VALU_DEP_2)
	v_add_f64 v[2:3], v[2:3], v[16:17]
	s_and_not1_b32 exec_lo, exec_lo, s5
	s_cbranch_execnz .LBB21_14
; %bb.15:
	s_set_inst_prefetch_distance 0x2
	s_or_b32 exec_lo, exec_lo, s5
.LBB21_16:
	s_delay_alu instid0(SALU_CYCLE_1) | instskip(SKIP_1) | instid1(VALU_DEP_1)
	s_or_b32 exec_lo, exec_lo, s12
	s_waitcnt vmcnt(0)
	v_dual_mov_b32 v7, v3 :: v_dual_mov_b32 v6, v2
	s_delay_alu instid0(VALU_DEP_3)
	v_dual_mov_b32 v5, v1 :: v_dual_mov_b32 v4, v0
.LBB21_17:
	s_load_b128 s[0:3], s[0:1], 0x40
	s_waitcnt vmcnt(0)
	v_lshlrev_b64 v[0:1], 4, v[8:9]
	s_waitcnt lgkmcnt(0)
	s_mul_i32 s3, s4, s3
	s_mul_hi_u32 s5, s4, s2
	s_mul_i32 s2, s4, s2
	s_add_i32 s3, s5, s3
	s_delay_alu instid0(SALU_CYCLE_1) | instskip(NEXT) | instid1(SALU_CYCLE_1)
	s_lshl_b64 s[2:3], s[2:3], 4
	s_add_u32 s0, s0, s2
	s_addc_u32 s1, s1, s3
	v_add_co_u32 v0, vcc_lo, s0, v0
	v_add_co_ci_u32_e32 v1, vcc_lo, s1, v1, vcc_lo
	global_store_b128 v[0:1], v[4:7], off
.LBB21_18:
	s_nop 0
	s_sendmsg sendmsg(MSG_DEALLOC_VGPRS)
	s_endpgm
	.section	.rodata,"a",@progbits
	.p2align	6, 0x0
	.amdhsa_kernel _ZL20rocblas_tpmvn_kernelILi512EPKPK19rocblas_complex_numIdEPKPS1_S6_EvbbiT0_llT1_lllT2_li
		.amdhsa_group_segment_fixed_size 0
		.amdhsa_private_segment_fixed_size 0
		.amdhsa_kernarg_size 344
		.amdhsa_user_sgpr_count 14
		.amdhsa_user_sgpr_dispatch_ptr 0
		.amdhsa_user_sgpr_queue_ptr 0
		.amdhsa_user_sgpr_kernarg_segment_ptr 1
		.amdhsa_user_sgpr_dispatch_id 0
		.amdhsa_user_sgpr_private_segment_size 0
		.amdhsa_wavefront_size32 1
		.amdhsa_uses_dynamic_stack 0
		.amdhsa_enable_private_segment 0
		.amdhsa_system_sgpr_workgroup_id_x 1
		.amdhsa_system_sgpr_workgroup_id_y 0
		.amdhsa_system_sgpr_workgroup_id_z 1
		.amdhsa_system_sgpr_workgroup_info 0
		.amdhsa_system_vgpr_workitem_id 0
		.amdhsa_next_free_vgpr 24
		.amdhsa_next_free_sgpr 32
		.amdhsa_reserve_vcc 1
		.amdhsa_float_round_mode_32 0
		.amdhsa_float_round_mode_16_64 0
		.amdhsa_float_denorm_mode_32 3
		.amdhsa_float_denorm_mode_16_64 3
		.amdhsa_dx10_clamp 1
		.amdhsa_ieee_mode 1
		.amdhsa_fp16_overflow 0
		.amdhsa_workgroup_processor_mode 1
		.amdhsa_memory_ordered 1
		.amdhsa_forward_progress 0
		.amdhsa_shared_vgpr_count 0
		.amdhsa_exception_fp_ieee_invalid_op 0
		.amdhsa_exception_fp_denorm_src 0
		.amdhsa_exception_fp_ieee_div_zero 0
		.amdhsa_exception_fp_ieee_overflow 0
		.amdhsa_exception_fp_ieee_underflow 0
		.amdhsa_exception_fp_ieee_inexact 0
		.amdhsa_exception_int_div_zero 0
	.end_amdhsa_kernel
	.section	.text._ZL20rocblas_tpmvn_kernelILi512EPKPK19rocblas_complex_numIdEPKPS1_S6_EvbbiT0_llT1_lllT2_li,"axG",@progbits,_ZL20rocblas_tpmvn_kernelILi512EPKPK19rocblas_complex_numIdEPKPS1_S6_EvbbiT0_llT1_lllT2_li,comdat
.Lfunc_end21:
	.size	_ZL20rocblas_tpmvn_kernelILi512EPKPK19rocblas_complex_numIdEPKPS1_S6_EvbbiT0_llT1_lllT2_li, .Lfunc_end21-_ZL20rocblas_tpmvn_kernelILi512EPKPK19rocblas_complex_numIdEPKPS1_S6_EvbbiT0_llT1_lllT2_li
                                        ; -- End function
	.section	.AMDGPU.csdata,"",@progbits
; Kernel info:
; codeLenInByte = 1420
; NumSgprs: 34
; NumVgprs: 24
; ScratchSize: 0
; MemoryBound: 0
; FloatMode: 240
; IeeeMode: 1
; LDSByteSize: 0 bytes/workgroup (compile time only)
; SGPRBlocks: 4
; VGPRBlocks: 2
; NumSGPRsForWavesPerEU: 34
; NumVGPRsForWavesPerEU: 24
; Occupancy: 16
; WaveLimiterHint : 1
; COMPUTE_PGM_RSRC2:SCRATCH_EN: 0
; COMPUTE_PGM_RSRC2:USER_SGPR: 14
; COMPUTE_PGM_RSRC2:TRAP_HANDLER: 0
; COMPUTE_PGM_RSRC2:TGID_X_EN: 1
; COMPUTE_PGM_RSRC2:TGID_Y_EN: 0
; COMPUTE_PGM_RSRC2:TGID_Z_EN: 1
; COMPUTE_PGM_RSRC2:TIDIG_COMP_CNT: 0
	.section	.text._ZL20rocblas_tpmvt_kernelILi512EPKPK19rocblas_complex_numIdEPKPS1_S6_EvbbiT0_llT1_lllT2_li,"axG",@progbits,_ZL20rocblas_tpmvt_kernelILi512EPKPK19rocblas_complex_numIdEPKPS1_S6_EvbbiT0_llT1_lllT2_li,comdat
	.globl	_ZL20rocblas_tpmvt_kernelILi512EPKPK19rocblas_complex_numIdEPKPS1_S6_EvbbiT0_llT1_lllT2_li ; -- Begin function _ZL20rocblas_tpmvt_kernelILi512EPKPK19rocblas_complex_numIdEPKPS1_S6_EvbbiT0_llT1_lllT2_li
	.p2align	8
	.type	_ZL20rocblas_tpmvt_kernelILi512EPKPK19rocblas_complex_numIdEPKPS1_S6_EvbbiT0_llT1_lllT2_li,@function
_ZL20rocblas_tpmvt_kernelILi512EPKPK19rocblas_complex_numIdEPKPS1_S6_EvbbiT0_llT1_lllT2_li: ; @_ZL20rocblas_tpmvt_kernelILi512EPKPK19rocblas_complex_numIdEPKPS1_S6_EvbbiT0_llT1_lllT2_li
; %bb.0:
	s_clause 0x1
	s_load_b32 s5, s[0:1], 0x64
	s_load_b64 s[2:3], s[0:1], 0x0
	s_waitcnt lgkmcnt(0)
	s_and_b32 s5, s5, 0xffff
	s_delay_alu instid0(SALU_CYCLE_1) | instskip(SKIP_1) | instid1(VALU_DEP_1)
	v_mad_u64_u32 v[8:9], null, s14, s5, v[0:1]
	s_mov_b32 s5, exec_lo
	v_cmpx_gt_i32_e64 s3, v8
	s_cbranch_execz .LBB22_18
; %bb.1:
	s_clause 0x1
	s_load_b32 s5, s[0:1], 0x0
	s_load_b128 s[8:11], s[0:1], 0x8
	s_mov_b32 s4, s15
	v_ashrrev_i32_e32 v9, 31, v8
	s_waitcnt lgkmcnt(0)
	s_and_b32 s20, s5, 1
	s_bitcmp1_b32 s2, 8
	s_mov_b32 s5, 0
	s_cselect_b32 s2, -1, 0
	s_lshl_b64 s[16:17], s[4:5], 3
	s_xor_b32 s5, s2, -1
	s_add_u32 s6, s8, s16
	s_addc_u32 s7, s9, s17
	s_lshl_b64 s[10:11], s[10:11], 4
	s_load_b64 s[8:9], s[6:7], 0x0
	s_clause 0x1
	s_load_b128 s[12:15], s[0:1], 0x20
	s_load_b64 s[6:7], s[0:1], 0x30
	v_cndmask_b32_e64 v4, 0, 1, s5
	s_waitcnt lgkmcnt(0)
	s_add_u32 s18, s8, s10
	s_addc_u32 s19, s9, s11
	s_add_u32 s12, s12, s16
	s_addc_u32 s13, s13, s17
	v_mul_lo_u32 v2, v8, s7
	s_load_b64 s[12:13], s[12:13], 0x0
	v_mul_lo_u32 v3, v9, s6
	v_mad_u64_u32 v[0:1], null, v8, s6, 0
	s_lshl_b64 s[14:15], s[14:15], 4
	s_delay_alu instid0(VALU_DEP_1) | instskip(NEXT) | instid1(VALU_DEP_1)
	v_add3_u32 v1, v1, v2, v3
	v_lshlrev_b64 v[0:1], 4, v[0:1]
	s_waitcnt lgkmcnt(0)
	s_add_u32 s2, s12, s14
	s_addc_u32 s16, s13, s15
	s_delay_alu instid0(VALU_DEP_1) | instskip(NEXT) | instid1(VALU_DEP_2)
	v_add_co_u32 v0, vcc_lo, s2, v0
	v_add_co_ci_u32_e32 v1, vcc_lo, s16, v1, vcc_lo
	v_cmp_ne_u32_e32 vcc_lo, 1, v4
	s_cmp_eq_u32 s20, 0
	s_mov_b32 s2, -1
	global_load_b128 v[0:3], v[0:1], off
	s_cbranch_scc0 .LBB22_9
; %bb.2:
	s_waitcnt vmcnt(0)
	v_dual_mov_b32 v5, v1 :: v_dual_mov_b32 v4, v0
	v_dual_mov_b32 v7, v3 :: v_dual_mov_b32 v6, v2
	s_and_b32 vcc_lo, exec_lo, vcc_lo
	s_cbranch_vccnz .LBB22_4
; %bb.3:
	v_add_co_u32 v6, vcc_lo, v8, -1
	v_add_co_ci_u32_e32 v4, vcc_lo, -1, v9, vcc_lo
	s_delay_alu instid0(VALU_DEP_2) | instskip(NEXT) | instid1(VALU_DEP_2)
	v_mul_lo_u32 v10, v6, v9
	v_mul_lo_u32 v7, v4, v8
	v_mad_u64_u32 v[4:5], null, v6, v8, 0
	s_delay_alu instid0(VALU_DEP_1) | instskip(SKIP_1) | instid1(VALU_DEP_2)
	v_add3_u32 v5, v5, v10, v7
	v_mad_i64_i32 v[6:7], null, v8, s3, 0
	v_lshrrev_b64 v[4:5], 1, v[4:5]
	s_delay_alu instid0(VALU_DEP_1) | instskip(NEXT) | instid1(VALU_DEP_2)
	v_sub_co_u32 v4, vcc_lo, v6, v4
	v_sub_co_ci_u32_e32 v5, vcc_lo, v7, v5, vcc_lo
	s_delay_alu instid0(VALU_DEP_1) | instskip(NEXT) | instid1(VALU_DEP_1)
	v_lshlrev_b64 v[4:5], 4, v[4:5]
	v_add_co_u32 v4, vcc_lo, s18, v4
	s_delay_alu instid0(VALU_DEP_2) | instskip(SKIP_4) | instid1(VALU_DEP_2)
	v_add_co_ci_u32_e32 v5, vcc_lo, s19, v5, vcc_lo
	global_load_b128 v[10:13], v[4:5], off
	s_waitcnt vmcnt(0)
	v_mul_f64 v[4:5], v[2:3], v[12:13]
	v_mul_f64 v[6:7], v[0:1], v[12:13]
	v_fma_f64 v[4:5], v[0:1], v[10:11], -v[4:5]
	s_delay_alu instid0(VALU_DEP_2)
	v_fma_f64 v[6:7], v[2:3], v[10:11], v[6:7]
.LBB22_4:
	v_add_nc_u32_e32 v10, 1, v8
	s_mov_b32 s20, exec_lo
	s_delay_alu instid0(VALU_DEP_1)
	v_cmpx_gt_i32_e64 s3, v10
	s_cbranch_execz .LBB22_8
; %bb.5:
	v_add_co_u32 v11, vcc_lo, v8, -1
	v_add_co_ci_u32_e32 v12, vcc_lo, -1, v9, vcc_lo
	s_ashr_i32 s17, s3, 31
	s_delay_alu instid0(VALU_DEP_2) | instskip(SKIP_1) | instid1(VALU_DEP_2)
	v_mul_lo_u32 v15, v11, v9
	s_mov_b32 s16, s3
	v_mul_lo_u32 v14, v12, v8
	v_mad_u64_u32 v[12:13], null, v11, v8, 0
	s_lshl_b64 s[16:17], s[16:17], 4
	v_ashrrev_i32_e32 v11, 31, v10
	s_add_u32 s2, s16, -16
	s_addc_u32 s16, s17, -1
	v_mul_lo_u32 v20, s2, v9
	v_mul_lo_u32 v21, s16, v8
	s_delay_alu instid0(VALU_DEP_4) | instskip(SKIP_3) | instid1(VALU_DEP_4)
	v_add3_u32 v13, v13, v15, v14
	v_mad_u64_u32 v[14:15], null, s2, v8, s[10:11]
	v_lshlrev_b64 v[16:17], 4, v[10:11]
	v_mul_lo_u32 v22, s7, v10
	v_lshlrev_b64 v[12:13], 3, v[12:13]
	v_mul_lo_u32 v11, s6, v11
	v_mad_u64_u32 v[18:19], null, s6, v10, 0
	v_add3_u32 v15, v21, v15, v20
	v_add_co_u32 v14, vcc_lo, v14, v16
	v_and_b32_e32 v12, -16, v12
	s_add_u32 s2, s12, s14
	s_delay_alu instid0(VALU_DEP_3) | instskip(SKIP_1) | instid1(VALU_DEP_3)
	v_add_co_ci_u32_e32 v15, vcc_lo, v15, v17, vcc_lo
	v_add3_u32 v19, v19, v11, v22
	v_sub_co_u32 v14, vcc_lo, v14, v12
	s_delay_alu instid0(VALU_DEP_3) | instskip(NEXT) | instid1(VALU_DEP_3)
	v_sub_co_ci_u32_e32 v13, vcc_lo, v15, v13, vcc_lo
	v_lshlrev_b64 v[11:12], 4, v[18:19]
	s_delay_alu instid0(VALU_DEP_3) | instskip(NEXT) | instid1(VALU_DEP_3)
	v_add_co_u32 v14, vcc_lo, s8, v14
	v_add_co_ci_u32_e32 v13, vcc_lo, s9, v13, vcc_lo
	s_addc_u32 s16, s13, s15
	s_delay_alu instid0(VALU_DEP_3) | instskip(NEXT) | instid1(VALU_DEP_4)
	v_add_co_u32 v15, vcc_lo, s2, v11
	v_add_co_ci_u32_e32 v16, vcc_lo, s16, v12, vcc_lo
	v_add_co_u32 v11, vcc_lo, v14, 8
	v_add_co_ci_u32_e32 v12, vcc_lo, 0, v13, vcc_lo
	s_delay_alu instid0(VALU_DEP_4) | instskip(NEXT) | instid1(VALU_DEP_4)
	v_add_co_u32 v13, vcc_lo, v15, 8
	v_add_co_ci_u32_e32 v14, vcc_lo, 0, v16, vcc_lo
	s_lshl_b64 s[16:17], s[6:7], 4
	s_mov_b32 s21, 0
	.p2align	6
.LBB22_6:                               ; =>This Inner Loop Header: Depth=1
	global_load_b128 v[15:18], v[13:14], off offset:-8
	global_load_b128 v[19:22], v[11:12], off offset:-8
	v_add_nc_u32_e32 v10, 1, v10
	v_add_co_u32 v11, vcc_lo, v11, 16
	v_add_co_ci_u32_e32 v12, vcc_lo, 0, v12, vcc_lo
	s_delay_alu instid0(VALU_DEP_3) | instskip(SKIP_1) | instid1(VALU_DEP_1)
	v_cmp_le_i32_e32 vcc_lo, s3, v10
	v_add_co_u32 v13, s2, v13, s16
	v_add_co_ci_u32_e64 v14, s2, s17, v14, s2
	s_or_b32 s21, vcc_lo, s21
	s_waitcnt vmcnt(0)
	v_mul_f64 v[23:24], v[17:18], v[21:22]
	v_mul_f64 v[21:22], v[15:16], v[21:22]
	s_delay_alu instid0(VALU_DEP_2) | instskip(NEXT) | instid1(VALU_DEP_2)
	v_fma_f64 v[15:16], v[15:16], v[19:20], -v[23:24]
	v_fma_f64 v[17:18], v[17:18], v[19:20], v[21:22]
	s_delay_alu instid0(VALU_DEP_2) | instskip(NEXT) | instid1(VALU_DEP_2)
	v_add_f64 v[4:5], v[4:5], v[15:16]
	v_add_f64 v[6:7], v[6:7], v[17:18]
	s_and_not1_b32 exec_lo, exec_lo, s21
	s_cbranch_execnz .LBB22_6
; %bb.7:
	s_or_b32 exec_lo, exec_lo, s21
.LBB22_8:
	s_delay_alu instid0(SALU_CYCLE_1)
	s_or_b32 exec_lo, exec_lo, s20
	s_branch .LBB22_17
.LBB22_9:
                                        ; implicit-def: $vgpr6_vgpr7
	s_and_b32 vcc_lo, exec_lo, s2
	s_cbranch_vccz .LBB22_17
; %bb.10:
	v_add_nc_u32_e32 v4, 1, v8
	s_and_not1_b32 vcc_lo, exec_lo, s5
	s_cbranch_vccnz .LBB22_12
; %bb.11:
	s_delay_alu instid0(VALU_DEP_1) | instskip(SKIP_1) | instid1(VALU_DEP_2)
	v_mad_i64_i32 v[5:6], null, v4, v8, 0
	v_lshlrev_b64 v[10:11], 4, v[8:9]
	v_lshlrev_b64 v[5:6], 3, v[5:6]
	s_delay_alu instid0(VALU_DEP_1) | instskip(NEXT) | instid1(VALU_DEP_1)
	v_and_b32_e32 v5, -16, v5
	v_add_co_u32 v5, vcc_lo, s18, v5
	s_delay_alu instid0(VALU_DEP_3) | instskip(NEXT) | instid1(VALU_DEP_2)
	v_add_co_ci_u32_e32 v6, vcc_lo, s19, v6, vcc_lo
	v_add_co_u32 v5, vcc_lo, v5, v10
	s_delay_alu instid0(VALU_DEP_2) | instskip(SKIP_4) | instid1(VALU_DEP_2)
	v_add_co_ci_u32_e32 v6, vcc_lo, v6, v11, vcc_lo
	global_load_b128 v[10:13], v[5:6], off
	s_waitcnt vmcnt(0)
	v_mul_f64 v[5:6], v[2:3], v[12:13]
	v_mul_f64 v[12:13], v[0:1], v[12:13]
	v_fma_f64 v[0:1], v[0:1], v[10:11], -v[5:6]
	s_delay_alu instid0(VALU_DEP_2)
	v_fma_f64 v[2:3], v[2:3], v[10:11], v[12:13]
.LBB22_12:
	s_mov_b32 s5, 0
	s_mov_b32 s3, exec_lo
	v_cmpx_lt_i32_e32 0, v8
	s_cbranch_execz .LBB22_16
; %bb.13:
	v_mad_u64_u32 v[5:6], null, v4, v8, 0
	s_add_u32 s2, s8, s10
	s_addc_u32 s8, s9, s11
	s_add_u32 s9, s12, s14
	s_delay_alu instid0(VALU_DEP_1) | instskip(NEXT) | instid1(VALU_DEP_1)
	v_mad_u64_u32 v[10:11], null, v4, v9, v[6:7]
	v_mov_b32_e32 v6, v10
	s_delay_alu instid0(VALU_DEP_1) | instskip(SKIP_1) | instid1(VALU_DEP_2)
	v_lshlrev_b64 v[4:5], 3, v[5:6]
	v_mov_b32_e32 v6, v8
	v_and_b32_e32 v4, -16, v4
	s_delay_alu instid0(VALU_DEP_1) | instskip(NEXT) | instid1(VALU_DEP_4)
	v_add_co_u32 v4, vcc_lo, s2, v4
	v_add_co_ci_u32_e32 v5, vcc_lo, s8, v5, vcc_lo
	s_addc_u32 s2, s13, s15
	s_delay_alu instid0(VALU_DEP_2) | instskip(NEXT) | instid1(VALU_DEP_2)
	v_add_co_u32 v4, vcc_lo, v4, 8
	v_add_co_ci_u32_e32 v5, vcc_lo, 0, v5, vcc_lo
	s_add_u32 s8, s9, 8
	s_addc_u32 s9, s2, 0
	s_lshl_b64 s[6:7], s[6:7], 4
	.p2align	6
.LBB22_14:                              ; =>This Inner Loop Header: Depth=1
	global_load_b128 v[10:13], v[4:5], off offset:-8
	s_add_u32 s10, s8, -8
	s_addc_u32 s11, s9, -1
	v_add_nc_u32_e32 v6, -1, v6
	s_load_b128 s[12:15], s[10:11], 0x0
	v_add_co_u32 v4, vcc_lo, v4, 16
	v_add_co_ci_u32_e32 v5, vcc_lo, 0, v5, vcc_lo
	s_delay_alu instid0(VALU_DEP_3) | instskip(SKIP_2) | instid1(VALU_DEP_1)
	v_cmp_eq_u32_e64 s2, 0, v6
	s_add_u32 s8, s8, s6
	s_addc_u32 s9, s9, s7
	s_or_b32 s5, s2, s5
	s_waitcnt vmcnt(0) lgkmcnt(0)
	v_mul_f64 v[14:15], s[14:15], v[12:13]
	v_mul_f64 v[12:13], s[12:13], v[12:13]
	s_delay_alu instid0(VALU_DEP_2) | instskip(NEXT) | instid1(VALU_DEP_2)
	v_fma_f64 v[14:15], s[12:13], v[10:11], -v[14:15]
	v_fma_f64 v[10:11], s[14:15], v[10:11], v[12:13]
	s_delay_alu instid0(VALU_DEP_2) | instskip(NEXT) | instid1(VALU_DEP_2)
	v_add_f64 v[0:1], v[0:1], v[14:15]
	v_add_f64 v[2:3], v[2:3], v[10:11]
	s_and_not1_b32 exec_lo, exec_lo, s5
	s_cbranch_execnz .LBB22_14
; %bb.15:
	s_or_b32 exec_lo, exec_lo, s5
.LBB22_16:
	s_delay_alu instid0(SALU_CYCLE_1) | instskip(SKIP_1) | instid1(VALU_DEP_1)
	s_or_b32 exec_lo, exec_lo, s3
	s_waitcnt vmcnt(0)
	v_dual_mov_b32 v7, v3 :: v_dual_mov_b32 v6, v2
	s_delay_alu instid0(VALU_DEP_3)
	v_dual_mov_b32 v5, v1 :: v_dual_mov_b32 v4, v0
.LBB22_17:
	s_load_b128 s[0:3], s[0:1], 0x40
	s_waitcnt vmcnt(0)
	v_lshlrev_b64 v[0:1], 4, v[8:9]
	s_waitcnt lgkmcnt(0)
	s_mul_i32 s3, s4, s3
	s_mul_hi_u32 s5, s4, s2
	s_mul_i32 s2, s4, s2
	s_add_i32 s3, s5, s3
	s_delay_alu instid0(SALU_CYCLE_1) | instskip(NEXT) | instid1(SALU_CYCLE_1)
	s_lshl_b64 s[2:3], s[2:3], 4
	s_add_u32 s0, s0, s2
	s_addc_u32 s1, s1, s3
	v_add_co_u32 v0, vcc_lo, s0, v0
	v_add_co_ci_u32_e32 v1, vcc_lo, s1, v1, vcc_lo
	global_store_b128 v[0:1], v[4:7], off
.LBB22_18:
	s_nop 0
	s_sendmsg sendmsg(MSG_DEALLOC_VGPRS)
	s_endpgm
	.section	.rodata,"a",@progbits
	.p2align	6, 0x0
	.amdhsa_kernel _ZL20rocblas_tpmvt_kernelILi512EPKPK19rocblas_complex_numIdEPKPS1_S6_EvbbiT0_llT1_lllT2_li
		.amdhsa_group_segment_fixed_size 0
		.amdhsa_private_segment_fixed_size 0
		.amdhsa_kernarg_size 344
		.amdhsa_user_sgpr_count 14
		.amdhsa_user_sgpr_dispatch_ptr 0
		.amdhsa_user_sgpr_queue_ptr 0
		.amdhsa_user_sgpr_kernarg_segment_ptr 1
		.amdhsa_user_sgpr_dispatch_id 0
		.amdhsa_user_sgpr_private_segment_size 0
		.amdhsa_wavefront_size32 1
		.amdhsa_uses_dynamic_stack 0
		.amdhsa_enable_private_segment 0
		.amdhsa_system_sgpr_workgroup_id_x 1
		.amdhsa_system_sgpr_workgroup_id_y 0
		.amdhsa_system_sgpr_workgroup_id_z 1
		.amdhsa_system_sgpr_workgroup_info 0
		.amdhsa_system_vgpr_workitem_id 0
		.amdhsa_next_free_vgpr 25
		.amdhsa_next_free_sgpr 22
		.amdhsa_reserve_vcc 1
		.amdhsa_float_round_mode_32 0
		.amdhsa_float_round_mode_16_64 0
		.amdhsa_float_denorm_mode_32 3
		.amdhsa_float_denorm_mode_16_64 3
		.amdhsa_dx10_clamp 1
		.amdhsa_ieee_mode 1
		.amdhsa_fp16_overflow 0
		.amdhsa_workgroup_processor_mode 1
		.amdhsa_memory_ordered 1
		.amdhsa_forward_progress 0
		.amdhsa_shared_vgpr_count 0
		.amdhsa_exception_fp_ieee_invalid_op 0
		.amdhsa_exception_fp_denorm_src 0
		.amdhsa_exception_fp_ieee_div_zero 0
		.amdhsa_exception_fp_ieee_overflow 0
		.amdhsa_exception_fp_ieee_underflow 0
		.amdhsa_exception_fp_ieee_inexact 0
		.amdhsa_exception_int_div_zero 0
	.end_amdhsa_kernel
	.section	.text._ZL20rocblas_tpmvt_kernelILi512EPKPK19rocblas_complex_numIdEPKPS1_S6_EvbbiT0_llT1_lllT2_li,"axG",@progbits,_ZL20rocblas_tpmvt_kernelILi512EPKPK19rocblas_complex_numIdEPKPS1_S6_EvbbiT0_llT1_lllT2_li,comdat
.Lfunc_end22:
	.size	_ZL20rocblas_tpmvt_kernelILi512EPKPK19rocblas_complex_numIdEPKPS1_S6_EvbbiT0_llT1_lllT2_li, .Lfunc_end22-_ZL20rocblas_tpmvt_kernelILi512EPKPK19rocblas_complex_numIdEPKPS1_S6_EvbbiT0_llT1_lllT2_li
                                        ; -- End function
	.section	.AMDGPU.csdata,"",@progbits
; Kernel info:
; codeLenInByte = 1436
; NumSgprs: 24
; NumVgprs: 25
; ScratchSize: 0
; MemoryBound: 0
; FloatMode: 240
; IeeeMode: 1
; LDSByteSize: 0 bytes/workgroup (compile time only)
; SGPRBlocks: 2
; VGPRBlocks: 3
; NumSGPRsForWavesPerEU: 24
; NumVGPRsForWavesPerEU: 25
; Occupancy: 16
; WaveLimiterHint : 1
; COMPUTE_PGM_RSRC2:SCRATCH_EN: 0
; COMPUTE_PGM_RSRC2:USER_SGPR: 14
; COMPUTE_PGM_RSRC2:TRAP_HANDLER: 0
; COMPUTE_PGM_RSRC2:TGID_X_EN: 1
; COMPUTE_PGM_RSRC2:TGID_Y_EN: 0
; COMPUTE_PGM_RSRC2:TGID_Z_EN: 1
; COMPUTE_PGM_RSRC2:TIDIG_COMP_CNT: 0
	.section	.text._ZL20rocblas_tpmvc_kernelILi512EPKPK19rocblas_complex_numIdEPKPS1_S6_EvbbiT0_llT1_lllT2_li,"axG",@progbits,_ZL20rocblas_tpmvc_kernelILi512EPKPK19rocblas_complex_numIdEPKPS1_S6_EvbbiT0_llT1_lllT2_li,comdat
	.globl	_ZL20rocblas_tpmvc_kernelILi512EPKPK19rocblas_complex_numIdEPKPS1_S6_EvbbiT0_llT1_lllT2_li ; -- Begin function _ZL20rocblas_tpmvc_kernelILi512EPKPK19rocblas_complex_numIdEPKPS1_S6_EvbbiT0_llT1_lllT2_li
	.p2align	8
	.type	_ZL20rocblas_tpmvc_kernelILi512EPKPK19rocblas_complex_numIdEPKPS1_S6_EvbbiT0_llT1_lllT2_li,@function
_ZL20rocblas_tpmvc_kernelILi512EPKPK19rocblas_complex_numIdEPKPS1_S6_EvbbiT0_llT1_lllT2_li: ; @_ZL20rocblas_tpmvc_kernelILi512EPKPK19rocblas_complex_numIdEPKPS1_S6_EvbbiT0_llT1_lllT2_li
; %bb.0:
	s_clause 0x1
	s_load_b32 s5, s[0:1], 0x64
	s_load_b64 s[2:3], s[0:1], 0x0
	s_waitcnt lgkmcnt(0)
	s_and_b32 s5, s5, 0xffff
	s_delay_alu instid0(SALU_CYCLE_1) | instskip(SKIP_1) | instid1(VALU_DEP_1)
	v_mad_u64_u32 v[8:9], null, s14, s5, v[0:1]
	s_mov_b32 s5, exec_lo
	v_cmpx_gt_i32_e64 s3, v8
	s_cbranch_execz .LBB23_18
; %bb.1:
	s_clause 0x1
	s_load_b32 s5, s[0:1], 0x0
	s_load_b128 s[8:11], s[0:1], 0x8
	s_mov_b32 s4, s15
	v_ashrrev_i32_e32 v9, 31, v8
	s_waitcnt lgkmcnt(0)
	s_and_b32 s20, s5, 1
	s_bitcmp1_b32 s2, 8
	s_mov_b32 s5, 0
	s_cselect_b32 s2, -1, 0
	s_lshl_b64 s[16:17], s[4:5], 3
	s_xor_b32 s5, s2, -1
	s_add_u32 s6, s8, s16
	s_addc_u32 s7, s9, s17
	s_lshl_b64 s[10:11], s[10:11], 4
	s_load_b64 s[8:9], s[6:7], 0x0
	s_clause 0x1
	s_load_b128 s[12:15], s[0:1], 0x20
	s_load_b64 s[6:7], s[0:1], 0x30
	v_cndmask_b32_e64 v4, 0, 1, s5
	s_waitcnt lgkmcnt(0)
	s_add_u32 s18, s8, s10
	s_addc_u32 s19, s9, s11
	s_add_u32 s12, s12, s16
	s_addc_u32 s13, s13, s17
	v_mul_lo_u32 v2, v8, s7
	s_load_b64 s[12:13], s[12:13], 0x0
	v_mul_lo_u32 v3, v9, s6
	v_mad_u64_u32 v[0:1], null, v8, s6, 0
	s_lshl_b64 s[14:15], s[14:15], 4
	s_delay_alu instid0(VALU_DEP_1) | instskip(NEXT) | instid1(VALU_DEP_1)
	v_add3_u32 v1, v1, v2, v3
	v_lshlrev_b64 v[0:1], 4, v[0:1]
	s_waitcnt lgkmcnt(0)
	s_add_u32 s2, s12, s14
	s_addc_u32 s16, s13, s15
	s_delay_alu instid0(VALU_DEP_1) | instskip(NEXT) | instid1(VALU_DEP_2)
	v_add_co_u32 v0, vcc_lo, s2, v0
	v_add_co_ci_u32_e32 v1, vcc_lo, s16, v1, vcc_lo
	v_cmp_ne_u32_e32 vcc_lo, 1, v4
	s_cmp_eq_u32 s20, 0
	s_mov_b32 s2, -1
	global_load_b128 v[0:3], v[0:1], off
	s_cbranch_scc0 .LBB23_9
; %bb.2:
	s_waitcnt vmcnt(0)
	v_dual_mov_b32 v5, v1 :: v_dual_mov_b32 v4, v0
	v_dual_mov_b32 v7, v3 :: v_dual_mov_b32 v6, v2
	s_and_b32 vcc_lo, exec_lo, vcc_lo
	s_cbranch_vccnz .LBB23_4
; %bb.3:
	v_add_co_u32 v6, vcc_lo, v8, -1
	v_add_co_ci_u32_e32 v4, vcc_lo, -1, v9, vcc_lo
	s_delay_alu instid0(VALU_DEP_2) | instskip(NEXT) | instid1(VALU_DEP_2)
	v_mul_lo_u32 v10, v6, v9
	v_mul_lo_u32 v7, v4, v8
	v_mad_u64_u32 v[4:5], null, v6, v8, 0
	s_delay_alu instid0(VALU_DEP_1) | instskip(SKIP_1) | instid1(VALU_DEP_2)
	v_add3_u32 v5, v5, v10, v7
	v_mad_i64_i32 v[6:7], null, v8, s3, 0
	v_lshrrev_b64 v[4:5], 1, v[4:5]
	s_delay_alu instid0(VALU_DEP_1) | instskip(NEXT) | instid1(VALU_DEP_2)
	v_sub_co_u32 v4, vcc_lo, v6, v4
	v_sub_co_ci_u32_e32 v5, vcc_lo, v7, v5, vcc_lo
	s_delay_alu instid0(VALU_DEP_1) | instskip(NEXT) | instid1(VALU_DEP_1)
	v_lshlrev_b64 v[4:5], 4, v[4:5]
	v_add_co_u32 v4, vcc_lo, s18, v4
	s_delay_alu instid0(VALU_DEP_2) | instskip(SKIP_4) | instid1(VALU_DEP_2)
	v_add_co_ci_u32_e32 v5, vcc_lo, s19, v5, vcc_lo
	global_load_b128 v[10:13], v[4:5], off
	s_waitcnt vmcnt(0)
	v_mul_f64 v[4:5], v[2:3], v[12:13]
	v_mul_f64 v[6:7], v[0:1], v[12:13]
	v_fma_f64 v[4:5], v[0:1], v[10:11], v[4:5]
	s_delay_alu instid0(VALU_DEP_2)
	v_fma_f64 v[6:7], v[2:3], v[10:11], -v[6:7]
.LBB23_4:
	v_add_nc_u32_e32 v10, 1, v8
	s_mov_b32 s20, exec_lo
	s_delay_alu instid0(VALU_DEP_1)
	v_cmpx_gt_i32_e64 s3, v10
	s_cbranch_execz .LBB23_8
; %bb.5:
	v_add_co_u32 v11, vcc_lo, v8, -1
	v_add_co_ci_u32_e32 v12, vcc_lo, -1, v9, vcc_lo
	s_ashr_i32 s17, s3, 31
	s_delay_alu instid0(VALU_DEP_2) | instskip(SKIP_1) | instid1(VALU_DEP_2)
	v_mul_lo_u32 v15, v11, v9
	s_mov_b32 s16, s3
	v_mul_lo_u32 v14, v12, v8
	v_mad_u64_u32 v[12:13], null, v11, v8, 0
	s_lshl_b64 s[16:17], s[16:17], 4
	v_ashrrev_i32_e32 v11, 31, v10
	s_add_u32 s2, s16, -16
	s_addc_u32 s16, s17, -1
	v_mul_lo_u32 v20, s2, v9
	v_mul_lo_u32 v21, s16, v8
	s_delay_alu instid0(VALU_DEP_4) | instskip(SKIP_3) | instid1(VALU_DEP_4)
	v_add3_u32 v13, v13, v15, v14
	v_mad_u64_u32 v[14:15], null, s2, v8, s[10:11]
	v_lshlrev_b64 v[16:17], 4, v[10:11]
	v_mul_lo_u32 v22, s7, v10
	v_lshlrev_b64 v[12:13], 3, v[12:13]
	v_mul_lo_u32 v11, s6, v11
	v_mad_u64_u32 v[18:19], null, s6, v10, 0
	v_add3_u32 v15, v21, v15, v20
	v_add_co_u32 v14, vcc_lo, v14, v16
	v_and_b32_e32 v12, -16, v12
	s_add_u32 s2, s12, s14
	s_delay_alu instid0(VALU_DEP_3) | instskip(SKIP_1) | instid1(VALU_DEP_3)
	v_add_co_ci_u32_e32 v15, vcc_lo, v15, v17, vcc_lo
	v_add3_u32 v19, v19, v11, v22
	v_sub_co_u32 v14, vcc_lo, v14, v12
	s_delay_alu instid0(VALU_DEP_3) | instskip(NEXT) | instid1(VALU_DEP_3)
	v_sub_co_ci_u32_e32 v13, vcc_lo, v15, v13, vcc_lo
	v_lshlrev_b64 v[11:12], 4, v[18:19]
	s_delay_alu instid0(VALU_DEP_3) | instskip(NEXT) | instid1(VALU_DEP_3)
	v_add_co_u32 v14, vcc_lo, s8, v14
	v_add_co_ci_u32_e32 v13, vcc_lo, s9, v13, vcc_lo
	s_addc_u32 s16, s13, s15
	s_delay_alu instid0(VALU_DEP_3) | instskip(NEXT) | instid1(VALU_DEP_4)
	v_add_co_u32 v15, vcc_lo, s2, v11
	v_add_co_ci_u32_e32 v16, vcc_lo, s16, v12, vcc_lo
	v_add_co_u32 v11, vcc_lo, v14, 8
	v_add_co_ci_u32_e32 v12, vcc_lo, 0, v13, vcc_lo
	s_delay_alu instid0(VALU_DEP_4) | instskip(NEXT) | instid1(VALU_DEP_4)
	v_add_co_u32 v13, vcc_lo, v15, 8
	v_add_co_ci_u32_e32 v14, vcc_lo, 0, v16, vcc_lo
	s_lshl_b64 s[16:17], s[6:7], 4
	s_mov_b32 s21, 0
	.p2align	6
.LBB23_6:                               ; =>This Inner Loop Header: Depth=1
	global_load_b128 v[15:18], v[11:12], off offset:-8
	global_load_b128 v[19:22], v[13:14], off offset:-8
	v_add_nc_u32_e32 v10, 1, v10
	v_add_co_u32 v11, vcc_lo, v11, 16
	v_add_co_ci_u32_e32 v12, vcc_lo, 0, v12, vcc_lo
	s_delay_alu instid0(VALU_DEP_3) | instskip(SKIP_1) | instid1(VALU_DEP_1)
	v_cmp_le_i32_e32 vcc_lo, s3, v10
	v_add_co_u32 v13, s2, v13, s16
	v_add_co_ci_u32_e64 v14, s2, s17, v14, s2
	s_or_b32 s21, vcc_lo, s21
	s_waitcnt vmcnt(0)
	v_mul_f64 v[23:24], v[17:18], v[21:22]
	v_mul_f64 v[17:18], v[17:18], v[19:20]
	s_delay_alu instid0(VALU_DEP_2) | instskip(NEXT) | instid1(VALU_DEP_2)
	v_fma_f64 v[19:20], v[15:16], v[19:20], v[23:24]
	v_fma_f64 v[15:16], v[15:16], v[21:22], -v[17:18]
	s_delay_alu instid0(VALU_DEP_2) | instskip(NEXT) | instid1(VALU_DEP_2)
	v_add_f64 v[4:5], v[4:5], v[19:20]
	v_add_f64 v[6:7], v[6:7], v[15:16]
	s_and_not1_b32 exec_lo, exec_lo, s21
	s_cbranch_execnz .LBB23_6
; %bb.7:
	s_or_b32 exec_lo, exec_lo, s21
.LBB23_8:
	s_delay_alu instid0(SALU_CYCLE_1)
	s_or_b32 exec_lo, exec_lo, s20
	s_branch .LBB23_17
.LBB23_9:
                                        ; implicit-def: $vgpr6_vgpr7
	s_and_b32 vcc_lo, exec_lo, s2
	s_cbranch_vccz .LBB23_17
; %bb.10:
	v_add_nc_u32_e32 v4, 1, v8
	s_and_not1_b32 vcc_lo, exec_lo, s5
	s_cbranch_vccnz .LBB23_12
; %bb.11:
	s_delay_alu instid0(VALU_DEP_1) | instskip(SKIP_1) | instid1(VALU_DEP_2)
	v_mad_i64_i32 v[5:6], null, v4, v8, 0
	v_lshlrev_b64 v[10:11], 4, v[8:9]
	v_lshlrev_b64 v[5:6], 3, v[5:6]
	s_delay_alu instid0(VALU_DEP_1) | instskip(NEXT) | instid1(VALU_DEP_1)
	v_and_b32_e32 v5, -16, v5
	v_add_co_u32 v5, vcc_lo, s18, v5
	s_delay_alu instid0(VALU_DEP_3) | instskip(NEXT) | instid1(VALU_DEP_2)
	v_add_co_ci_u32_e32 v6, vcc_lo, s19, v6, vcc_lo
	v_add_co_u32 v5, vcc_lo, v5, v10
	s_delay_alu instid0(VALU_DEP_2) | instskip(SKIP_4) | instid1(VALU_DEP_2)
	v_add_co_ci_u32_e32 v6, vcc_lo, v6, v11, vcc_lo
	global_load_b128 v[10:13], v[5:6], off
	s_waitcnt vmcnt(0)
	v_mul_f64 v[5:6], v[2:3], v[12:13]
	v_mul_f64 v[12:13], v[0:1], v[12:13]
	v_fma_f64 v[0:1], v[0:1], v[10:11], v[5:6]
	s_delay_alu instid0(VALU_DEP_2)
	v_fma_f64 v[2:3], v[2:3], v[10:11], -v[12:13]
.LBB23_12:
	s_mov_b32 s5, 0
	s_mov_b32 s3, exec_lo
	v_cmpx_lt_i32_e32 0, v8
	s_cbranch_execz .LBB23_16
; %bb.13:
	v_mad_u64_u32 v[5:6], null, v4, v8, 0
	s_add_u32 s2, s8, s10
	s_addc_u32 s8, s9, s11
	s_add_u32 s9, s12, s14
	s_delay_alu instid0(VALU_DEP_1) | instskip(NEXT) | instid1(VALU_DEP_1)
	v_mad_u64_u32 v[10:11], null, v4, v9, v[6:7]
	v_mov_b32_e32 v6, v10
	s_delay_alu instid0(VALU_DEP_1) | instskip(SKIP_1) | instid1(VALU_DEP_2)
	v_lshlrev_b64 v[4:5], 3, v[5:6]
	v_mov_b32_e32 v6, v8
	v_and_b32_e32 v4, -16, v4
	s_delay_alu instid0(VALU_DEP_1) | instskip(NEXT) | instid1(VALU_DEP_4)
	v_add_co_u32 v4, vcc_lo, s2, v4
	v_add_co_ci_u32_e32 v5, vcc_lo, s8, v5, vcc_lo
	s_addc_u32 s2, s13, s15
	s_delay_alu instid0(VALU_DEP_2) | instskip(NEXT) | instid1(VALU_DEP_2)
	v_add_co_u32 v4, vcc_lo, v4, 8
	v_add_co_ci_u32_e32 v5, vcc_lo, 0, v5, vcc_lo
	s_add_u32 s8, s9, 8
	s_addc_u32 s9, s2, 0
	s_lshl_b64 s[6:7], s[6:7], 4
	.p2align	6
.LBB23_14:                              ; =>This Inner Loop Header: Depth=1
	global_load_b128 v[10:13], v[4:5], off offset:-8
	s_add_u32 s10, s8, -8
	s_addc_u32 s11, s9, -1
	v_add_nc_u32_e32 v6, -1, v6
	s_load_b128 s[12:15], s[10:11], 0x0
	v_add_co_u32 v4, vcc_lo, v4, 16
	v_add_co_ci_u32_e32 v5, vcc_lo, 0, v5, vcc_lo
	s_delay_alu instid0(VALU_DEP_3) | instskip(SKIP_2) | instid1(VALU_DEP_1)
	v_cmp_eq_u32_e64 s2, 0, v6
	s_add_u32 s8, s8, s6
	s_addc_u32 s9, s9, s7
	s_or_b32 s5, s2, s5
	s_waitcnt vmcnt(0) lgkmcnt(0)
	v_mul_f64 v[14:15], v[12:13], s[14:15]
	v_mul_f64 v[12:13], v[12:13], s[12:13]
	s_delay_alu instid0(VALU_DEP_2) | instskip(NEXT) | instid1(VALU_DEP_2)
	v_fma_f64 v[14:15], v[10:11], s[12:13], v[14:15]
	v_fma_f64 v[10:11], v[10:11], s[14:15], -v[12:13]
	s_delay_alu instid0(VALU_DEP_2) | instskip(NEXT) | instid1(VALU_DEP_2)
	v_add_f64 v[0:1], v[0:1], v[14:15]
	v_add_f64 v[2:3], v[2:3], v[10:11]
	s_and_not1_b32 exec_lo, exec_lo, s5
	s_cbranch_execnz .LBB23_14
; %bb.15:
	s_or_b32 exec_lo, exec_lo, s5
.LBB23_16:
	s_delay_alu instid0(SALU_CYCLE_1) | instskip(SKIP_1) | instid1(VALU_DEP_1)
	s_or_b32 exec_lo, exec_lo, s3
	s_waitcnt vmcnt(0)
	v_dual_mov_b32 v7, v3 :: v_dual_mov_b32 v6, v2
	s_delay_alu instid0(VALU_DEP_3)
	v_dual_mov_b32 v5, v1 :: v_dual_mov_b32 v4, v0
.LBB23_17:
	s_load_b128 s[0:3], s[0:1], 0x40
	s_waitcnt vmcnt(0)
	v_lshlrev_b64 v[0:1], 4, v[8:9]
	s_waitcnt lgkmcnt(0)
	s_mul_i32 s3, s4, s3
	s_mul_hi_u32 s5, s4, s2
	s_mul_i32 s2, s4, s2
	s_add_i32 s3, s5, s3
	s_delay_alu instid0(SALU_CYCLE_1) | instskip(NEXT) | instid1(SALU_CYCLE_1)
	s_lshl_b64 s[2:3], s[2:3], 4
	s_add_u32 s0, s0, s2
	s_addc_u32 s1, s1, s3
	v_add_co_u32 v0, vcc_lo, s0, v0
	v_add_co_ci_u32_e32 v1, vcc_lo, s1, v1, vcc_lo
	global_store_b128 v[0:1], v[4:7], off
.LBB23_18:
	s_nop 0
	s_sendmsg sendmsg(MSG_DEALLOC_VGPRS)
	s_endpgm
	.section	.rodata,"a",@progbits
	.p2align	6, 0x0
	.amdhsa_kernel _ZL20rocblas_tpmvc_kernelILi512EPKPK19rocblas_complex_numIdEPKPS1_S6_EvbbiT0_llT1_lllT2_li
		.amdhsa_group_segment_fixed_size 0
		.amdhsa_private_segment_fixed_size 0
		.amdhsa_kernarg_size 344
		.amdhsa_user_sgpr_count 14
		.amdhsa_user_sgpr_dispatch_ptr 0
		.amdhsa_user_sgpr_queue_ptr 0
		.amdhsa_user_sgpr_kernarg_segment_ptr 1
		.amdhsa_user_sgpr_dispatch_id 0
		.amdhsa_user_sgpr_private_segment_size 0
		.amdhsa_wavefront_size32 1
		.amdhsa_uses_dynamic_stack 0
		.amdhsa_enable_private_segment 0
		.amdhsa_system_sgpr_workgroup_id_x 1
		.amdhsa_system_sgpr_workgroup_id_y 0
		.amdhsa_system_sgpr_workgroup_id_z 1
		.amdhsa_system_sgpr_workgroup_info 0
		.amdhsa_system_vgpr_workitem_id 0
		.amdhsa_next_free_vgpr 25
		.amdhsa_next_free_sgpr 22
		.amdhsa_reserve_vcc 1
		.amdhsa_float_round_mode_32 0
		.amdhsa_float_round_mode_16_64 0
		.amdhsa_float_denorm_mode_32 3
		.amdhsa_float_denorm_mode_16_64 3
		.amdhsa_dx10_clamp 1
		.amdhsa_ieee_mode 1
		.amdhsa_fp16_overflow 0
		.amdhsa_workgroup_processor_mode 1
		.amdhsa_memory_ordered 1
		.amdhsa_forward_progress 0
		.amdhsa_shared_vgpr_count 0
		.amdhsa_exception_fp_ieee_invalid_op 0
		.amdhsa_exception_fp_denorm_src 0
		.amdhsa_exception_fp_ieee_div_zero 0
		.amdhsa_exception_fp_ieee_overflow 0
		.amdhsa_exception_fp_ieee_underflow 0
		.amdhsa_exception_fp_ieee_inexact 0
		.amdhsa_exception_int_div_zero 0
	.end_amdhsa_kernel
	.section	.text._ZL20rocblas_tpmvc_kernelILi512EPKPK19rocblas_complex_numIdEPKPS1_S6_EvbbiT0_llT1_lllT2_li,"axG",@progbits,_ZL20rocblas_tpmvc_kernelILi512EPKPK19rocblas_complex_numIdEPKPS1_S6_EvbbiT0_llT1_lllT2_li,comdat
.Lfunc_end23:
	.size	_ZL20rocblas_tpmvc_kernelILi512EPKPK19rocblas_complex_numIdEPKPS1_S6_EvbbiT0_llT1_lllT2_li, .Lfunc_end23-_ZL20rocblas_tpmvc_kernelILi512EPKPK19rocblas_complex_numIdEPKPS1_S6_EvbbiT0_llT1_lllT2_li
                                        ; -- End function
	.section	.AMDGPU.csdata,"",@progbits
; Kernel info:
; codeLenInByte = 1436
; NumSgprs: 24
; NumVgprs: 25
; ScratchSize: 0
; MemoryBound: 0
; FloatMode: 240
; IeeeMode: 1
; LDSByteSize: 0 bytes/workgroup (compile time only)
; SGPRBlocks: 2
; VGPRBlocks: 3
; NumSGPRsForWavesPerEU: 24
; NumVGPRsForWavesPerEU: 25
; Occupancy: 16
; WaveLimiterHint : 1
; COMPUTE_PGM_RSRC2:SCRATCH_EN: 0
; COMPUTE_PGM_RSRC2:USER_SGPR: 14
; COMPUTE_PGM_RSRC2:TRAP_HANDLER: 0
; COMPUTE_PGM_RSRC2:TGID_X_EN: 1
; COMPUTE_PGM_RSRC2:TGID_Y_EN: 0
; COMPUTE_PGM_RSRC2:TGID_Z_EN: 1
; COMPUTE_PGM_RSRC2:TIDIG_COMP_CNT: 0
	.text
	.p2alignl 7, 3214868480
	.fill 96, 4, 3214868480
	.type	__hip_cuid_1d88ea8d8d1e5e48,@object ; @__hip_cuid_1d88ea8d8d1e5e48
	.section	.bss,"aw",@nobits
	.globl	__hip_cuid_1d88ea8d8d1e5e48
__hip_cuid_1d88ea8d8d1e5e48:
	.byte	0                               ; 0x0
	.size	__hip_cuid_1d88ea8d8d1e5e48, 1

	.ident	"AMD clang version 19.0.0git (https://github.com/RadeonOpenCompute/llvm-project roc-6.4.0 25133 c7fe45cf4b819c5991fe208aaa96edf142730f1d)"
	.section	".note.GNU-stack","",@progbits
	.addrsig
	.addrsig_sym __hip_cuid_1d88ea8d8d1e5e48
	.amdgpu_metadata
---
amdhsa.kernels:
  - .args:
      - .offset:         0
        .size:           1
        .value_kind:     by_value
      - .offset:         1
        .size:           1
        .value_kind:     by_value
      - .offset:         4
        .size:           4
        .value_kind:     by_value
      - .address_space:  global
        .offset:         8
        .size:           8
        .value_kind:     global_buffer
      - .offset:         16
        .size:           8
        .value_kind:     by_value
      - .offset:         24
        .size:           8
        .value_kind:     by_value
      - .address_space:  global
        .offset:         32
        .size:           8
        .value_kind:     global_buffer
      - .offset:         40
        .size:           8
        .value_kind:     by_value
      - .offset:         48
        .size:           8
        .value_kind:     by_value
      - .offset:         56
        .size:           8
        .value_kind:     by_value
      - .address_space:  global
        .offset:         64
        .size:           8
        .value_kind:     global_buffer
      - .offset:         72
        .size:           8
        .value_kind:     by_value
      - .offset:         80
        .size:           4
        .value_kind:     by_value
      - .offset:         88
        .size:           4
        .value_kind:     hidden_block_count_x
      - .offset:         92
        .size:           4
        .value_kind:     hidden_block_count_y
      - .offset:         96
        .size:           4
        .value_kind:     hidden_block_count_z
      - .offset:         100
        .size:           2
        .value_kind:     hidden_group_size_x
      - .offset:         102
        .size:           2
        .value_kind:     hidden_group_size_y
      - .offset:         104
        .size:           2
        .value_kind:     hidden_group_size_z
      - .offset:         106
        .size:           2
        .value_kind:     hidden_remainder_x
      - .offset:         108
        .size:           2
        .value_kind:     hidden_remainder_y
      - .offset:         110
        .size:           2
        .value_kind:     hidden_remainder_z
      - .offset:         128
        .size:           8
        .value_kind:     hidden_global_offset_x
      - .offset:         136
        .size:           8
        .value_kind:     hidden_global_offset_y
      - .offset:         144
        .size:           8
        .value_kind:     hidden_global_offset_z
      - .offset:         152
        .size:           2
        .value_kind:     hidden_grid_dims
    .group_segment_fixed_size: 0
    .kernarg_segment_align: 8
    .kernarg_segment_size: 344
    .language:       OpenCL C
    .language_version:
      - 2
      - 0
    .max_flat_workgroup_size: 512
    .name:           _ZL20rocblas_tpmvn_kernelILi512EPKfPfS2_EvbbiT0_llT1_lllT2_li
    .private_segment_fixed_size: 0
    .sgpr_count:     38
    .sgpr_spill_count: 0
    .symbol:         _ZL20rocblas_tpmvn_kernelILi512EPKfPfS2_EvbbiT0_llT1_lllT2_li.kd
    .uniform_work_group_size: 1
    .uses_dynamic_stack: false
    .vgpr_count:     15
    .vgpr_spill_count: 0
    .wavefront_size: 32
    .workgroup_processor_mode: 1
  - .args:
      - .offset:         0
        .size:           1
        .value_kind:     by_value
      - .offset:         1
        .size:           1
        .value_kind:     by_value
      - .offset:         4
        .size:           4
        .value_kind:     by_value
      - .address_space:  global
        .offset:         8
        .size:           8
        .value_kind:     global_buffer
      - .offset:         16
        .size:           8
        .value_kind:     by_value
      - .offset:         24
        .size:           8
        .value_kind:     by_value
      - .address_space:  global
        .offset:         32
        .size:           8
        .value_kind:     global_buffer
      - .offset:         40
        .size:           8
        .value_kind:     by_value
      - .offset:         48
        .size:           8
        .value_kind:     by_value
      - .offset:         56
        .size:           8
        .value_kind:     by_value
      - .address_space:  global
        .offset:         64
        .size:           8
        .value_kind:     global_buffer
      - .offset:         72
        .size:           8
        .value_kind:     by_value
      - .offset:         80
        .size:           4
        .value_kind:     by_value
      - .offset:         88
        .size:           4
        .value_kind:     hidden_block_count_x
      - .offset:         92
        .size:           4
        .value_kind:     hidden_block_count_y
      - .offset:         96
        .size:           4
        .value_kind:     hidden_block_count_z
      - .offset:         100
        .size:           2
        .value_kind:     hidden_group_size_x
      - .offset:         102
        .size:           2
        .value_kind:     hidden_group_size_y
      - .offset:         104
        .size:           2
        .value_kind:     hidden_group_size_z
      - .offset:         106
        .size:           2
        .value_kind:     hidden_remainder_x
      - .offset:         108
        .size:           2
        .value_kind:     hidden_remainder_y
      - .offset:         110
        .size:           2
        .value_kind:     hidden_remainder_z
      - .offset:         128
        .size:           8
        .value_kind:     hidden_global_offset_x
      - .offset:         136
        .size:           8
        .value_kind:     hidden_global_offset_y
      - .offset:         144
        .size:           8
        .value_kind:     hidden_global_offset_z
      - .offset:         152
        .size:           2
        .value_kind:     hidden_grid_dims
    .group_segment_fixed_size: 0
    .kernarg_segment_align: 8
    .kernarg_segment_size: 344
    .language:       OpenCL C
    .language_version:
      - 2
      - 0
    .max_flat_workgroup_size: 512
    .name:           _ZL20rocblas_tpmvt_kernelILi512EPKfPfS2_EvbbiT0_llT1_lllT2_li
    .private_segment_fixed_size: 0
    .sgpr_count:     36
    .sgpr_spill_count: 0
    .symbol:         _ZL20rocblas_tpmvt_kernelILi512EPKfPfS2_EvbbiT0_llT1_lllT2_li.kd
    .uniform_work_group_size: 1
    .uses_dynamic_stack: false
    .vgpr_count:     18
    .vgpr_spill_count: 0
    .wavefront_size: 32
    .workgroup_processor_mode: 1
  - .args:
      - .offset:         0
        .size:           1
        .value_kind:     by_value
      - .offset:         1
        .size:           1
        .value_kind:     by_value
      - .offset:         4
        .size:           4
        .value_kind:     by_value
      - .address_space:  global
        .offset:         8
        .size:           8
        .value_kind:     global_buffer
      - .offset:         16
        .size:           8
        .value_kind:     by_value
      - .offset:         24
        .size:           8
        .value_kind:     by_value
      - .address_space:  global
        .offset:         32
        .size:           8
        .value_kind:     global_buffer
      - .offset:         40
        .size:           8
        .value_kind:     by_value
      - .offset:         48
        .size:           8
        .value_kind:     by_value
      - .offset:         56
        .size:           8
        .value_kind:     by_value
      - .address_space:  global
        .offset:         64
        .size:           8
        .value_kind:     global_buffer
      - .offset:         72
        .size:           8
        .value_kind:     by_value
      - .offset:         80
        .size:           4
        .value_kind:     by_value
      - .offset:         88
        .size:           4
        .value_kind:     hidden_block_count_x
      - .offset:         92
        .size:           4
        .value_kind:     hidden_block_count_y
      - .offset:         96
        .size:           4
        .value_kind:     hidden_block_count_z
      - .offset:         100
        .size:           2
        .value_kind:     hidden_group_size_x
      - .offset:         102
        .size:           2
        .value_kind:     hidden_group_size_y
      - .offset:         104
        .size:           2
        .value_kind:     hidden_group_size_z
      - .offset:         106
        .size:           2
        .value_kind:     hidden_remainder_x
      - .offset:         108
        .size:           2
        .value_kind:     hidden_remainder_y
      - .offset:         110
        .size:           2
        .value_kind:     hidden_remainder_z
      - .offset:         128
        .size:           8
        .value_kind:     hidden_global_offset_x
      - .offset:         136
        .size:           8
        .value_kind:     hidden_global_offset_y
      - .offset:         144
        .size:           8
        .value_kind:     hidden_global_offset_z
      - .offset:         152
        .size:           2
        .value_kind:     hidden_grid_dims
    .group_segment_fixed_size: 0
    .kernarg_segment_align: 8
    .kernarg_segment_size: 344
    .language:       OpenCL C
    .language_version:
      - 2
      - 0
    .max_flat_workgroup_size: 512
    .name:           _ZL20rocblas_tpmvc_kernelILi512EPKfPfS2_EvbbiT0_llT1_lllT2_li
    .private_segment_fixed_size: 0
    .sgpr_count:     36
    .sgpr_spill_count: 0
    .symbol:         _ZL20rocblas_tpmvc_kernelILi512EPKfPfS2_EvbbiT0_llT1_lllT2_li.kd
    .uniform_work_group_size: 1
    .uses_dynamic_stack: false
    .vgpr_count:     18
    .vgpr_spill_count: 0
    .wavefront_size: 32
    .workgroup_processor_mode: 1
  - .args:
      - .offset:         0
        .size:           1
        .value_kind:     by_value
      - .offset:         1
        .size:           1
        .value_kind:     by_value
      - .offset:         4
        .size:           4
        .value_kind:     by_value
      - .address_space:  global
        .offset:         8
        .size:           8
        .value_kind:     global_buffer
      - .offset:         16
        .size:           8
        .value_kind:     by_value
      - .offset:         24
        .size:           8
        .value_kind:     by_value
      - .address_space:  global
        .offset:         32
        .size:           8
        .value_kind:     global_buffer
      - .offset:         40
        .size:           8
        .value_kind:     by_value
      - .offset:         48
        .size:           8
        .value_kind:     by_value
      - .offset:         56
        .size:           8
        .value_kind:     by_value
      - .address_space:  global
        .offset:         64
        .size:           8
        .value_kind:     global_buffer
      - .offset:         72
        .size:           8
        .value_kind:     by_value
      - .offset:         80
        .size:           4
        .value_kind:     by_value
      - .offset:         88
        .size:           4
        .value_kind:     hidden_block_count_x
      - .offset:         92
        .size:           4
        .value_kind:     hidden_block_count_y
      - .offset:         96
        .size:           4
        .value_kind:     hidden_block_count_z
      - .offset:         100
        .size:           2
        .value_kind:     hidden_group_size_x
      - .offset:         102
        .size:           2
        .value_kind:     hidden_group_size_y
      - .offset:         104
        .size:           2
        .value_kind:     hidden_group_size_z
      - .offset:         106
        .size:           2
        .value_kind:     hidden_remainder_x
      - .offset:         108
        .size:           2
        .value_kind:     hidden_remainder_y
      - .offset:         110
        .size:           2
        .value_kind:     hidden_remainder_z
      - .offset:         128
        .size:           8
        .value_kind:     hidden_global_offset_x
      - .offset:         136
        .size:           8
        .value_kind:     hidden_global_offset_y
      - .offset:         144
        .size:           8
        .value_kind:     hidden_global_offset_z
      - .offset:         152
        .size:           2
        .value_kind:     hidden_grid_dims
    .group_segment_fixed_size: 0
    .kernarg_segment_align: 8
    .kernarg_segment_size: 344
    .language:       OpenCL C
    .language_version:
      - 2
      - 0
    .max_flat_workgroup_size: 512
    .name:           _ZL20rocblas_tpmvn_kernelILi512EPKdPdS2_EvbbiT0_llT1_lllT2_li
    .private_segment_fixed_size: 0
    .sgpr_count:     38
    .sgpr_spill_count: 0
    .symbol:         _ZL20rocblas_tpmvn_kernelILi512EPKdPdS2_EvbbiT0_llT1_lllT2_li.kd
    .uniform_work_group_size: 1
    .uses_dynamic_stack: false
    .vgpr_count:     16
    .vgpr_spill_count: 0
    .wavefront_size: 32
    .workgroup_processor_mode: 1
  - .args:
      - .offset:         0
        .size:           1
        .value_kind:     by_value
      - .offset:         1
        .size:           1
        .value_kind:     by_value
      - .offset:         4
        .size:           4
        .value_kind:     by_value
      - .address_space:  global
        .offset:         8
        .size:           8
        .value_kind:     global_buffer
      - .offset:         16
        .size:           8
        .value_kind:     by_value
      - .offset:         24
        .size:           8
        .value_kind:     by_value
      - .address_space:  global
        .offset:         32
        .size:           8
        .value_kind:     global_buffer
      - .offset:         40
        .size:           8
        .value_kind:     by_value
      - .offset:         48
        .size:           8
        .value_kind:     by_value
      - .offset:         56
        .size:           8
        .value_kind:     by_value
      - .address_space:  global
        .offset:         64
        .size:           8
        .value_kind:     global_buffer
      - .offset:         72
        .size:           8
        .value_kind:     by_value
      - .offset:         80
        .size:           4
        .value_kind:     by_value
      - .offset:         88
        .size:           4
        .value_kind:     hidden_block_count_x
      - .offset:         92
        .size:           4
        .value_kind:     hidden_block_count_y
      - .offset:         96
        .size:           4
        .value_kind:     hidden_block_count_z
      - .offset:         100
        .size:           2
        .value_kind:     hidden_group_size_x
      - .offset:         102
        .size:           2
        .value_kind:     hidden_group_size_y
      - .offset:         104
        .size:           2
        .value_kind:     hidden_group_size_z
      - .offset:         106
        .size:           2
        .value_kind:     hidden_remainder_x
      - .offset:         108
        .size:           2
        .value_kind:     hidden_remainder_y
      - .offset:         110
        .size:           2
        .value_kind:     hidden_remainder_z
      - .offset:         128
        .size:           8
        .value_kind:     hidden_global_offset_x
      - .offset:         136
        .size:           8
        .value_kind:     hidden_global_offset_y
      - .offset:         144
        .size:           8
        .value_kind:     hidden_global_offset_z
      - .offset:         152
        .size:           2
        .value_kind:     hidden_grid_dims
    .group_segment_fixed_size: 0
    .kernarg_segment_align: 8
    .kernarg_segment_size: 344
    .language:       OpenCL C
    .language_version:
      - 2
      - 0
    .max_flat_workgroup_size: 512
    .name:           _ZL20rocblas_tpmvt_kernelILi512EPKdPdS2_EvbbiT0_llT1_lllT2_li
    .private_segment_fixed_size: 0
    .sgpr_count:     36
    .sgpr_spill_count: 0
    .symbol:         _ZL20rocblas_tpmvt_kernelILi512EPKdPdS2_EvbbiT0_llT1_lllT2_li.kd
    .uniform_work_group_size: 1
    .uses_dynamic_stack: false
    .vgpr_count:     20
    .vgpr_spill_count: 0
    .wavefront_size: 32
    .workgroup_processor_mode: 1
  - .args:
      - .offset:         0
        .size:           1
        .value_kind:     by_value
      - .offset:         1
        .size:           1
        .value_kind:     by_value
      - .offset:         4
        .size:           4
        .value_kind:     by_value
      - .address_space:  global
        .offset:         8
        .size:           8
        .value_kind:     global_buffer
      - .offset:         16
        .size:           8
        .value_kind:     by_value
      - .offset:         24
        .size:           8
        .value_kind:     by_value
      - .address_space:  global
        .offset:         32
        .size:           8
        .value_kind:     global_buffer
      - .offset:         40
        .size:           8
        .value_kind:     by_value
      - .offset:         48
        .size:           8
        .value_kind:     by_value
      - .offset:         56
        .size:           8
        .value_kind:     by_value
      - .address_space:  global
        .offset:         64
        .size:           8
        .value_kind:     global_buffer
      - .offset:         72
        .size:           8
        .value_kind:     by_value
      - .offset:         80
        .size:           4
        .value_kind:     by_value
      - .offset:         88
        .size:           4
        .value_kind:     hidden_block_count_x
      - .offset:         92
        .size:           4
        .value_kind:     hidden_block_count_y
      - .offset:         96
        .size:           4
        .value_kind:     hidden_block_count_z
      - .offset:         100
        .size:           2
        .value_kind:     hidden_group_size_x
      - .offset:         102
        .size:           2
        .value_kind:     hidden_group_size_y
      - .offset:         104
        .size:           2
        .value_kind:     hidden_group_size_z
      - .offset:         106
        .size:           2
        .value_kind:     hidden_remainder_x
      - .offset:         108
        .size:           2
        .value_kind:     hidden_remainder_y
      - .offset:         110
        .size:           2
        .value_kind:     hidden_remainder_z
      - .offset:         128
        .size:           8
        .value_kind:     hidden_global_offset_x
      - .offset:         136
        .size:           8
        .value_kind:     hidden_global_offset_y
      - .offset:         144
        .size:           8
        .value_kind:     hidden_global_offset_z
      - .offset:         152
        .size:           2
        .value_kind:     hidden_grid_dims
    .group_segment_fixed_size: 0
    .kernarg_segment_align: 8
    .kernarg_segment_size: 344
    .language:       OpenCL C
    .language_version:
      - 2
      - 0
    .max_flat_workgroup_size: 512
    .name:           _ZL20rocblas_tpmvc_kernelILi512EPKdPdS2_EvbbiT0_llT1_lllT2_li
    .private_segment_fixed_size: 0
    .sgpr_count:     36
    .sgpr_spill_count: 0
    .symbol:         _ZL20rocblas_tpmvc_kernelILi512EPKdPdS2_EvbbiT0_llT1_lllT2_li.kd
    .uniform_work_group_size: 1
    .uses_dynamic_stack: false
    .vgpr_count:     20
    .vgpr_spill_count: 0
    .wavefront_size: 32
    .workgroup_processor_mode: 1
  - .args:
      - .offset:         0
        .size:           1
        .value_kind:     by_value
      - .offset:         1
        .size:           1
        .value_kind:     by_value
      - .offset:         4
        .size:           4
        .value_kind:     by_value
      - .address_space:  global
        .offset:         8
        .size:           8
        .value_kind:     global_buffer
      - .offset:         16
        .size:           8
        .value_kind:     by_value
      - .offset:         24
        .size:           8
        .value_kind:     by_value
      - .address_space:  global
        .offset:         32
        .size:           8
        .value_kind:     global_buffer
      - .offset:         40
        .size:           8
        .value_kind:     by_value
      - .offset:         48
        .size:           8
        .value_kind:     by_value
      - .offset:         56
        .size:           8
        .value_kind:     by_value
      - .address_space:  global
        .offset:         64
        .size:           8
        .value_kind:     global_buffer
      - .offset:         72
        .size:           8
        .value_kind:     by_value
      - .offset:         80
        .size:           4
        .value_kind:     by_value
      - .offset:         88
        .size:           4
        .value_kind:     hidden_block_count_x
      - .offset:         92
        .size:           4
        .value_kind:     hidden_block_count_y
      - .offset:         96
        .size:           4
        .value_kind:     hidden_block_count_z
      - .offset:         100
        .size:           2
        .value_kind:     hidden_group_size_x
      - .offset:         102
        .size:           2
        .value_kind:     hidden_group_size_y
      - .offset:         104
        .size:           2
        .value_kind:     hidden_group_size_z
      - .offset:         106
        .size:           2
        .value_kind:     hidden_remainder_x
      - .offset:         108
        .size:           2
        .value_kind:     hidden_remainder_y
      - .offset:         110
        .size:           2
        .value_kind:     hidden_remainder_z
      - .offset:         128
        .size:           8
        .value_kind:     hidden_global_offset_x
      - .offset:         136
        .size:           8
        .value_kind:     hidden_global_offset_y
      - .offset:         144
        .size:           8
        .value_kind:     hidden_global_offset_z
      - .offset:         152
        .size:           2
        .value_kind:     hidden_grid_dims
    .group_segment_fixed_size: 0
    .kernarg_segment_align: 8
    .kernarg_segment_size: 344
    .language:       OpenCL C
    .language_version:
      - 2
      - 0
    .max_flat_workgroup_size: 512
    .name:           _ZL20rocblas_tpmvn_kernelILi512EPK19rocblas_complex_numIfEPS1_S4_EvbbiT0_llT1_lllT2_li
    .private_segment_fixed_size: 0
    .sgpr_count:     40
    .sgpr_spill_count: 0
    .symbol:         _ZL20rocblas_tpmvn_kernelILi512EPK19rocblas_complex_numIfEPS1_S4_EvbbiT0_llT1_lllT2_li.kd
    .uniform_work_group_size: 1
    .uses_dynamic_stack: false
    .vgpr_count:     17
    .vgpr_spill_count: 0
    .wavefront_size: 32
    .workgroup_processor_mode: 1
  - .args:
      - .offset:         0
        .size:           1
        .value_kind:     by_value
      - .offset:         1
        .size:           1
        .value_kind:     by_value
      - .offset:         4
        .size:           4
        .value_kind:     by_value
      - .address_space:  global
        .offset:         8
        .size:           8
        .value_kind:     global_buffer
      - .offset:         16
        .size:           8
        .value_kind:     by_value
      - .offset:         24
        .size:           8
        .value_kind:     by_value
      - .address_space:  global
        .offset:         32
        .size:           8
        .value_kind:     global_buffer
      - .offset:         40
        .size:           8
        .value_kind:     by_value
      - .offset:         48
        .size:           8
        .value_kind:     by_value
      - .offset:         56
        .size:           8
        .value_kind:     by_value
      - .address_space:  global
        .offset:         64
        .size:           8
        .value_kind:     global_buffer
      - .offset:         72
        .size:           8
        .value_kind:     by_value
      - .offset:         80
        .size:           4
        .value_kind:     by_value
      - .offset:         88
        .size:           4
        .value_kind:     hidden_block_count_x
      - .offset:         92
        .size:           4
        .value_kind:     hidden_block_count_y
      - .offset:         96
        .size:           4
        .value_kind:     hidden_block_count_z
      - .offset:         100
        .size:           2
        .value_kind:     hidden_group_size_x
      - .offset:         102
        .size:           2
        .value_kind:     hidden_group_size_y
      - .offset:         104
        .size:           2
        .value_kind:     hidden_group_size_z
      - .offset:         106
        .size:           2
        .value_kind:     hidden_remainder_x
      - .offset:         108
        .size:           2
        .value_kind:     hidden_remainder_y
      - .offset:         110
        .size:           2
        .value_kind:     hidden_remainder_z
      - .offset:         128
        .size:           8
        .value_kind:     hidden_global_offset_x
      - .offset:         136
        .size:           8
        .value_kind:     hidden_global_offset_y
      - .offset:         144
        .size:           8
        .value_kind:     hidden_global_offset_z
      - .offset:         152
        .size:           2
        .value_kind:     hidden_grid_dims
    .group_segment_fixed_size: 0
    .kernarg_segment_align: 8
    .kernarg_segment_size: 344
    .language:       OpenCL C
    .language_version:
      - 2
      - 0
    .max_flat_workgroup_size: 512
    .name:           _ZL20rocblas_tpmvt_kernelILi512EPK19rocblas_complex_numIfEPS1_S4_EvbbiT0_llT1_lllT2_li
    .private_segment_fixed_size: 0
    .sgpr_count:     34
    .sgpr_spill_count: 0
    .symbol:         _ZL20rocblas_tpmvt_kernelILi512EPK19rocblas_complex_numIfEPS1_S4_EvbbiT0_llT1_lllT2_li.kd
    .uniform_work_group_size: 1
    .uses_dynamic_stack: false
    .vgpr_count:     20
    .vgpr_spill_count: 0
    .wavefront_size: 32
    .workgroup_processor_mode: 1
  - .args:
      - .offset:         0
        .size:           1
        .value_kind:     by_value
      - .offset:         1
        .size:           1
        .value_kind:     by_value
      - .offset:         4
        .size:           4
        .value_kind:     by_value
      - .address_space:  global
        .offset:         8
        .size:           8
        .value_kind:     global_buffer
      - .offset:         16
        .size:           8
        .value_kind:     by_value
      - .offset:         24
        .size:           8
        .value_kind:     by_value
      - .address_space:  global
        .offset:         32
        .size:           8
        .value_kind:     global_buffer
      - .offset:         40
        .size:           8
        .value_kind:     by_value
      - .offset:         48
        .size:           8
        .value_kind:     by_value
      - .offset:         56
        .size:           8
        .value_kind:     by_value
      - .address_space:  global
        .offset:         64
        .size:           8
        .value_kind:     global_buffer
      - .offset:         72
        .size:           8
        .value_kind:     by_value
      - .offset:         80
        .size:           4
        .value_kind:     by_value
      - .offset:         88
        .size:           4
        .value_kind:     hidden_block_count_x
      - .offset:         92
        .size:           4
        .value_kind:     hidden_block_count_y
      - .offset:         96
        .size:           4
        .value_kind:     hidden_block_count_z
      - .offset:         100
        .size:           2
        .value_kind:     hidden_group_size_x
      - .offset:         102
        .size:           2
        .value_kind:     hidden_group_size_y
      - .offset:         104
        .size:           2
        .value_kind:     hidden_group_size_z
      - .offset:         106
        .size:           2
        .value_kind:     hidden_remainder_x
      - .offset:         108
        .size:           2
        .value_kind:     hidden_remainder_y
      - .offset:         110
        .size:           2
        .value_kind:     hidden_remainder_z
      - .offset:         128
        .size:           8
        .value_kind:     hidden_global_offset_x
      - .offset:         136
        .size:           8
        .value_kind:     hidden_global_offset_y
      - .offset:         144
        .size:           8
        .value_kind:     hidden_global_offset_z
      - .offset:         152
        .size:           2
        .value_kind:     hidden_grid_dims
    .group_segment_fixed_size: 0
    .kernarg_segment_align: 8
    .kernarg_segment_size: 344
    .language:       OpenCL C
    .language_version:
      - 2
      - 0
    .max_flat_workgroup_size: 512
    .name:           _ZL20rocblas_tpmvc_kernelILi512EPK19rocblas_complex_numIfEPS1_S4_EvbbiT0_llT1_lllT2_li
    .private_segment_fixed_size: 0
    .sgpr_count:     34
    .sgpr_spill_count: 0
    .symbol:         _ZL20rocblas_tpmvc_kernelILi512EPK19rocblas_complex_numIfEPS1_S4_EvbbiT0_llT1_lllT2_li.kd
    .uniform_work_group_size: 1
    .uses_dynamic_stack: false
    .vgpr_count:     17
    .vgpr_spill_count: 0
    .wavefront_size: 32
    .workgroup_processor_mode: 1
  - .args:
      - .offset:         0
        .size:           1
        .value_kind:     by_value
      - .offset:         1
        .size:           1
        .value_kind:     by_value
      - .offset:         4
        .size:           4
        .value_kind:     by_value
      - .address_space:  global
        .offset:         8
        .size:           8
        .value_kind:     global_buffer
      - .offset:         16
        .size:           8
        .value_kind:     by_value
      - .offset:         24
        .size:           8
        .value_kind:     by_value
      - .address_space:  global
        .offset:         32
        .size:           8
        .value_kind:     global_buffer
      - .offset:         40
        .size:           8
        .value_kind:     by_value
      - .offset:         48
        .size:           8
        .value_kind:     by_value
      - .offset:         56
        .size:           8
        .value_kind:     by_value
      - .address_space:  global
        .offset:         64
        .size:           8
        .value_kind:     global_buffer
      - .offset:         72
        .size:           8
        .value_kind:     by_value
      - .offset:         80
        .size:           4
        .value_kind:     by_value
      - .offset:         88
        .size:           4
        .value_kind:     hidden_block_count_x
      - .offset:         92
        .size:           4
        .value_kind:     hidden_block_count_y
      - .offset:         96
        .size:           4
        .value_kind:     hidden_block_count_z
      - .offset:         100
        .size:           2
        .value_kind:     hidden_group_size_x
      - .offset:         102
        .size:           2
        .value_kind:     hidden_group_size_y
      - .offset:         104
        .size:           2
        .value_kind:     hidden_group_size_z
      - .offset:         106
        .size:           2
        .value_kind:     hidden_remainder_x
      - .offset:         108
        .size:           2
        .value_kind:     hidden_remainder_y
      - .offset:         110
        .size:           2
        .value_kind:     hidden_remainder_z
      - .offset:         128
        .size:           8
        .value_kind:     hidden_global_offset_x
      - .offset:         136
        .size:           8
        .value_kind:     hidden_global_offset_y
      - .offset:         144
        .size:           8
        .value_kind:     hidden_global_offset_z
      - .offset:         152
        .size:           2
        .value_kind:     hidden_grid_dims
    .group_segment_fixed_size: 0
    .kernarg_segment_align: 8
    .kernarg_segment_size: 344
    .language:       OpenCL C
    .language_version:
      - 2
      - 0
    .max_flat_workgroup_size: 512
    .name:           _ZL20rocblas_tpmvn_kernelILi512EPK19rocblas_complex_numIdEPS1_S4_EvbbiT0_llT1_lllT2_li
    .private_segment_fixed_size: 0
    .sgpr_count:     42
    .sgpr_spill_count: 0
    .symbol:         _ZL20rocblas_tpmvn_kernelILi512EPK19rocblas_complex_numIdEPS1_S4_EvbbiT0_llT1_lllT2_li.kd
    .uniform_work_group_size: 1
    .uses_dynamic_stack: false
    .vgpr_count:     24
    .vgpr_spill_count: 0
    .wavefront_size: 32
    .workgroup_processor_mode: 1
  - .args:
      - .offset:         0
        .size:           1
        .value_kind:     by_value
      - .offset:         1
        .size:           1
        .value_kind:     by_value
      - .offset:         4
        .size:           4
        .value_kind:     by_value
      - .address_space:  global
        .offset:         8
        .size:           8
        .value_kind:     global_buffer
      - .offset:         16
        .size:           8
        .value_kind:     by_value
      - .offset:         24
        .size:           8
        .value_kind:     by_value
      - .address_space:  global
        .offset:         32
        .size:           8
        .value_kind:     global_buffer
      - .offset:         40
        .size:           8
        .value_kind:     by_value
      - .offset:         48
        .size:           8
        .value_kind:     by_value
      - .offset:         56
        .size:           8
        .value_kind:     by_value
      - .address_space:  global
        .offset:         64
        .size:           8
        .value_kind:     global_buffer
      - .offset:         72
        .size:           8
        .value_kind:     by_value
      - .offset:         80
        .size:           4
        .value_kind:     by_value
      - .offset:         88
        .size:           4
        .value_kind:     hidden_block_count_x
      - .offset:         92
        .size:           4
        .value_kind:     hidden_block_count_y
      - .offset:         96
        .size:           4
        .value_kind:     hidden_block_count_z
      - .offset:         100
        .size:           2
        .value_kind:     hidden_group_size_x
      - .offset:         102
        .size:           2
        .value_kind:     hidden_group_size_y
      - .offset:         104
        .size:           2
        .value_kind:     hidden_group_size_z
      - .offset:         106
        .size:           2
        .value_kind:     hidden_remainder_x
      - .offset:         108
        .size:           2
        .value_kind:     hidden_remainder_y
      - .offset:         110
        .size:           2
        .value_kind:     hidden_remainder_z
      - .offset:         128
        .size:           8
        .value_kind:     hidden_global_offset_x
      - .offset:         136
        .size:           8
        .value_kind:     hidden_global_offset_y
      - .offset:         144
        .size:           8
        .value_kind:     hidden_global_offset_z
      - .offset:         152
        .size:           2
        .value_kind:     hidden_grid_dims
    .group_segment_fixed_size: 0
    .kernarg_segment_align: 8
    .kernarg_segment_size: 344
    .language:       OpenCL C
    .language_version:
      - 2
      - 0
    .max_flat_workgroup_size: 512
    .name:           _ZL20rocblas_tpmvt_kernelILi512EPK19rocblas_complex_numIdEPS1_S4_EvbbiT0_llT1_lllT2_li
    .private_segment_fixed_size: 0
    .sgpr_count:     34
    .sgpr_spill_count: 0
    .symbol:         _ZL20rocblas_tpmvt_kernelILi512EPK19rocblas_complex_numIdEPS1_S4_EvbbiT0_llT1_lllT2_li.kd
    .uniform_work_group_size: 1
    .uses_dynamic_stack: false
    .vgpr_count:     25
    .vgpr_spill_count: 0
    .wavefront_size: 32
    .workgroup_processor_mode: 1
  - .args:
      - .offset:         0
        .size:           1
        .value_kind:     by_value
      - .offset:         1
        .size:           1
        .value_kind:     by_value
      - .offset:         4
        .size:           4
        .value_kind:     by_value
      - .address_space:  global
        .offset:         8
        .size:           8
        .value_kind:     global_buffer
      - .offset:         16
        .size:           8
        .value_kind:     by_value
      - .offset:         24
        .size:           8
        .value_kind:     by_value
      - .address_space:  global
        .offset:         32
        .size:           8
        .value_kind:     global_buffer
      - .offset:         40
        .size:           8
        .value_kind:     by_value
      - .offset:         48
        .size:           8
        .value_kind:     by_value
      - .offset:         56
        .size:           8
        .value_kind:     by_value
      - .address_space:  global
        .offset:         64
        .size:           8
        .value_kind:     global_buffer
      - .offset:         72
        .size:           8
        .value_kind:     by_value
      - .offset:         80
        .size:           4
        .value_kind:     by_value
      - .offset:         88
        .size:           4
        .value_kind:     hidden_block_count_x
      - .offset:         92
        .size:           4
        .value_kind:     hidden_block_count_y
      - .offset:         96
        .size:           4
        .value_kind:     hidden_block_count_z
      - .offset:         100
        .size:           2
        .value_kind:     hidden_group_size_x
      - .offset:         102
        .size:           2
        .value_kind:     hidden_group_size_y
      - .offset:         104
        .size:           2
        .value_kind:     hidden_group_size_z
      - .offset:         106
        .size:           2
        .value_kind:     hidden_remainder_x
      - .offset:         108
        .size:           2
        .value_kind:     hidden_remainder_y
      - .offset:         110
        .size:           2
        .value_kind:     hidden_remainder_z
      - .offset:         128
        .size:           8
        .value_kind:     hidden_global_offset_x
      - .offset:         136
        .size:           8
        .value_kind:     hidden_global_offset_y
      - .offset:         144
        .size:           8
        .value_kind:     hidden_global_offset_z
      - .offset:         152
        .size:           2
        .value_kind:     hidden_grid_dims
    .group_segment_fixed_size: 0
    .kernarg_segment_align: 8
    .kernarg_segment_size: 344
    .language:       OpenCL C
    .language_version:
      - 2
      - 0
    .max_flat_workgroup_size: 512
    .name:           _ZL20rocblas_tpmvc_kernelILi512EPK19rocblas_complex_numIdEPS1_S4_EvbbiT0_llT1_lllT2_li
    .private_segment_fixed_size: 0
    .sgpr_count:     34
    .sgpr_spill_count: 0
    .symbol:         _ZL20rocblas_tpmvc_kernelILi512EPK19rocblas_complex_numIdEPS1_S4_EvbbiT0_llT1_lllT2_li.kd
    .uniform_work_group_size: 1
    .uses_dynamic_stack: false
    .vgpr_count:     25
    .vgpr_spill_count: 0
    .wavefront_size: 32
    .workgroup_processor_mode: 1
  - .args:
      - .offset:         0
        .size:           1
        .value_kind:     by_value
      - .offset:         1
        .size:           1
        .value_kind:     by_value
      - .offset:         4
        .size:           4
        .value_kind:     by_value
      - .address_space:  global
        .offset:         8
        .size:           8
        .value_kind:     global_buffer
      - .offset:         16
        .size:           8
        .value_kind:     by_value
      - .offset:         24
        .size:           8
        .value_kind:     by_value
      - .address_space:  global
        .offset:         32
        .size:           8
        .value_kind:     global_buffer
      - .offset:         40
        .size:           8
        .value_kind:     by_value
      - .offset:         48
        .size:           8
        .value_kind:     by_value
      - .offset:         56
        .size:           8
        .value_kind:     by_value
      - .address_space:  global
        .offset:         64
        .size:           8
        .value_kind:     global_buffer
      - .offset:         72
        .size:           8
        .value_kind:     by_value
      - .offset:         80
        .size:           4
        .value_kind:     by_value
      - .offset:         88
        .size:           4
        .value_kind:     hidden_block_count_x
      - .offset:         92
        .size:           4
        .value_kind:     hidden_block_count_y
      - .offset:         96
        .size:           4
        .value_kind:     hidden_block_count_z
      - .offset:         100
        .size:           2
        .value_kind:     hidden_group_size_x
      - .offset:         102
        .size:           2
        .value_kind:     hidden_group_size_y
      - .offset:         104
        .size:           2
        .value_kind:     hidden_group_size_z
      - .offset:         106
        .size:           2
        .value_kind:     hidden_remainder_x
      - .offset:         108
        .size:           2
        .value_kind:     hidden_remainder_y
      - .offset:         110
        .size:           2
        .value_kind:     hidden_remainder_z
      - .offset:         128
        .size:           8
        .value_kind:     hidden_global_offset_x
      - .offset:         136
        .size:           8
        .value_kind:     hidden_global_offset_y
      - .offset:         144
        .size:           8
        .value_kind:     hidden_global_offset_z
      - .offset:         152
        .size:           2
        .value_kind:     hidden_grid_dims
    .group_segment_fixed_size: 0
    .kernarg_segment_align: 8
    .kernarg_segment_size: 344
    .language:       OpenCL C
    .language_version:
      - 2
      - 0
    .max_flat_workgroup_size: 512
    .name:           _ZL20rocblas_tpmvn_kernelILi512EPKPKfPKPfS4_EvbbiT0_llT1_lllT2_li
    .private_segment_fixed_size: 0
    .sgpr_count:     33
    .sgpr_spill_count: 0
    .symbol:         _ZL20rocblas_tpmvn_kernelILi512EPKPKfPKPfS4_EvbbiT0_llT1_lllT2_li.kd
    .uniform_work_group_size: 1
    .uses_dynamic_stack: false
    .vgpr_count:     15
    .vgpr_spill_count: 0
    .wavefront_size: 32
    .workgroup_processor_mode: 1
  - .args:
      - .offset:         0
        .size:           1
        .value_kind:     by_value
      - .offset:         1
        .size:           1
        .value_kind:     by_value
      - .offset:         4
        .size:           4
        .value_kind:     by_value
      - .address_space:  global
        .offset:         8
        .size:           8
        .value_kind:     global_buffer
      - .offset:         16
        .size:           8
        .value_kind:     by_value
      - .offset:         24
        .size:           8
        .value_kind:     by_value
      - .address_space:  global
        .offset:         32
        .size:           8
        .value_kind:     global_buffer
      - .offset:         40
        .size:           8
        .value_kind:     by_value
      - .offset:         48
        .size:           8
        .value_kind:     by_value
      - .offset:         56
        .size:           8
        .value_kind:     by_value
      - .address_space:  global
        .offset:         64
        .size:           8
        .value_kind:     global_buffer
      - .offset:         72
        .size:           8
        .value_kind:     by_value
      - .offset:         80
        .size:           4
        .value_kind:     by_value
      - .offset:         88
        .size:           4
        .value_kind:     hidden_block_count_x
      - .offset:         92
        .size:           4
        .value_kind:     hidden_block_count_y
      - .offset:         96
        .size:           4
        .value_kind:     hidden_block_count_z
      - .offset:         100
        .size:           2
        .value_kind:     hidden_group_size_x
      - .offset:         102
        .size:           2
        .value_kind:     hidden_group_size_y
      - .offset:         104
        .size:           2
        .value_kind:     hidden_group_size_z
      - .offset:         106
        .size:           2
        .value_kind:     hidden_remainder_x
      - .offset:         108
        .size:           2
        .value_kind:     hidden_remainder_y
      - .offset:         110
        .size:           2
        .value_kind:     hidden_remainder_z
      - .offset:         128
        .size:           8
        .value_kind:     hidden_global_offset_x
      - .offset:         136
        .size:           8
        .value_kind:     hidden_global_offset_y
      - .offset:         144
        .size:           8
        .value_kind:     hidden_global_offset_z
      - .offset:         152
        .size:           2
        .value_kind:     hidden_grid_dims
    .group_segment_fixed_size: 0
    .kernarg_segment_align: 8
    .kernarg_segment_size: 344
    .language:       OpenCL C
    .language_version:
      - 2
      - 0
    .max_flat_workgroup_size: 512
    .name:           _ZL20rocblas_tpmvt_kernelILi512EPKPKfPKPfS4_EvbbiT0_llT1_lllT2_li
    .private_segment_fixed_size: 0
    .sgpr_count:     27
    .sgpr_spill_count: 0
    .symbol:         _ZL20rocblas_tpmvt_kernelILi512EPKPKfPKPfS4_EvbbiT0_llT1_lllT2_li.kd
    .uniform_work_group_size: 1
    .uses_dynamic_stack: false
    .vgpr_count:     18
    .vgpr_spill_count: 0
    .wavefront_size: 32
    .workgroup_processor_mode: 1
  - .args:
      - .offset:         0
        .size:           1
        .value_kind:     by_value
      - .offset:         1
        .size:           1
        .value_kind:     by_value
      - .offset:         4
        .size:           4
        .value_kind:     by_value
      - .address_space:  global
        .offset:         8
        .size:           8
        .value_kind:     global_buffer
      - .offset:         16
        .size:           8
        .value_kind:     by_value
      - .offset:         24
        .size:           8
        .value_kind:     by_value
      - .address_space:  global
        .offset:         32
        .size:           8
        .value_kind:     global_buffer
      - .offset:         40
        .size:           8
        .value_kind:     by_value
      - .offset:         48
        .size:           8
        .value_kind:     by_value
      - .offset:         56
        .size:           8
        .value_kind:     by_value
      - .address_space:  global
        .offset:         64
        .size:           8
        .value_kind:     global_buffer
      - .offset:         72
        .size:           8
        .value_kind:     by_value
      - .offset:         80
        .size:           4
        .value_kind:     by_value
      - .offset:         88
        .size:           4
        .value_kind:     hidden_block_count_x
      - .offset:         92
        .size:           4
        .value_kind:     hidden_block_count_y
      - .offset:         96
        .size:           4
        .value_kind:     hidden_block_count_z
      - .offset:         100
        .size:           2
        .value_kind:     hidden_group_size_x
      - .offset:         102
        .size:           2
        .value_kind:     hidden_group_size_y
      - .offset:         104
        .size:           2
        .value_kind:     hidden_group_size_z
      - .offset:         106
        .size:           2
        .value_kind:     hidden_remainder_x
      - .offset:         108
        .size:           2
        .value_kind:     hidden_remainder_y
      - .offset:         110
        .size:           2
        .value_kind:     hidden_remainder_z
      - .offset:         128
        .size:           8
        .value_kind:     hidden_global_offset_x
      - .offset:         136
        .size:           8
        .value_kind:     hidden_global_offset_y
      - .offset:         144
        .size:           8
        .value_kind:     hidden_global_offset_z
      - .offset:         152
        .size:           2
        .value_kind:     hidden_grid_dims
    .group_segment_fixed_size: 0
    .kernarg_segment_align: 8
    .kernarg_segment_size: 344
    .language:       OpenCL C
    .language_version:
      - 2
      - 0
    .max_flat_workgroup_size: 512
    .name:           _ZL20rocblas_tpmvc_kernelILi512EPKPKfPKPfS4_EvbbiT0_llT1_lllT2_li
    .private_segment_fixed_size: 0
    .sgpr_count:     27
    .sgpr_spill_count: 0
    .symbol:         _ZL20rocblas_tpmvc_kernelILi512EPKPKfPKPfS4_EvbbiT0_llT1_lllT2_li.kd
    .uniform_work_group_size: 1
    .uses_dynamic_stack: false
    .vgpr_count:     18
    .vgpr_spill_count: 0
    .wavefront_size: 32
    .workgroup_processor_mode: 1
  - .args:
      - .offset:         0
        .size:           1
        .value_kind:     by_value
      - .offset:         1
        .size:           1
        .value_kind:     by_value
      - .offset:         4
        .size:           4
        .value_kind:     by_value
      - .address_space:  global
        .offset:         8
        .size:           8
        .value_kind:     global_buffer
      - .offset:         16
        .size:           8
        .value_kind:     by_value
      - .offset:         24
        .size:           8
        .value_kind:     by_value
      - .address_space:  global
        .offset:         32
        .size:           8
        .value_kind:     global_buffer
      - .offset:         40
        .size:           8
        .value_kind:     by_value
      - .offset:         48
        .size:           8
        .value_kind:     by_value
      - .offset:         56
        .size:           8
        .value_kind:     by_value
      - .address_space:  global
        .offset:         64
        .size:           8
        .value_kind:     global_buffer
      - .offset:         72
        .size:           8
        .value_kind:     by_value
      - .offset:         80
        .size:           4
        .value_kind:     by_value
      - .offset:         88
        .size:           4
        .value_kind:     hidden_block_count_x
      - .offset:         92
        .size:           4
        .value_kind:     hidden_block_count_y
      - .offset:         96
        .size:           4
        .value_kind:     hidden_block_count_z
      - .offset:         100
        .size:           2
        .value_kind:     hidden_group_size_x
      - .offset:         102
        .size:           2
        .value_kind:     hidden_group_size_y
      - .offset:         104
        .size:           2
        .value_kind:     hidden_group_size_z
      - .offset:         106
        .size:           2
        .value_kind:     hidden_remainder_x
      - .offset:         108
        .size:           2
        .value_kind:     hidden_remainder_y
      - .offset:         110
        .size:           2
        .value_kind:     hidden_remainder_z
      - .offset:         128
        .size:           8
        .value_kind:     hidden_global_offset_x
      - .offset:         136
        .size:           8
        .value_kind:     hidden_global_offset_y
      - .offset:         144
        .size:           8
        .value_kind:     hidden_global_offset_z
      - .offset:         152
        .size:           2
        .value_kind:     hidden_grid_dims
    .group_segment_fixed_size: 0
    .kernarg_segment_align: 8
    .kernarg_segment_size: 344
    .language:       OpenCL C
    .language_version:
      - 2
      - 0
    .max_flat_workgroup_size: 512
    .name:           _ZL20rocblas_tpmvn_kernelILi512EPKPKdPKPdS4_EvbbiT0_llT1_lllT2_li
    .private_segment_fixed_size: 0
    .sgpr_count:     32
    .sgpr_spill_count: 0
    .symbol:         _ZL20rocblas_tpmvn_kernelILi512EPKPKdPKPdS4_EvbbiT0_llT1_lllT2_li.kd
    .uniform_work_group_size: 1
    .uses_dynamic_stack: false
    .vgpr_count:     16
    .vgpr_spill_count: 0
    .wavefront_size: 32
    .workgroup_processor_mode: 1
  - .args:
      - .offset:         0
        .size:           1
        .value_kind:     by_value
      - .offset:         1
        .size:           1
        .value_kind:     by_value
      - .offset:         4
        .size:           4
        .value_kind:     by_value
      - .address_space:  global
        .offset:         8
        .size:           8
        .value_kind:     global_buffer
      - .offset:         16
        .size:           8
        .value_kind:     by_value
      - .offset:         24
        .size:           8
        .value_kind:     by_value
      - .address_space:  global
        .offset:         32
        .size:           8
        .value_kind:     global_buffer
      - .offset:         40
        .size:           8
        .value_kind:     by_value
      - .offset:         48
        .size:           8
        .value_kind:     by_value
      - .offset:         56
        .size:           8
        .value_kind:     by_value
      - .address_space:  global
        .offset:         64
        .size:           8
        .value_kind:     global_buffer
      - .offset:         72
        .size:           8
        .value_kind:     by_value
      - .offset:         80
        .size:           4
        .value_kind:     by_value
      - .offset:         88
        .size:           4
        .value_kind:     hidden_block_count_x
      - .offset:         92
        .size:           4
        .value_kind:     hidden_block_count_y
      - .offset:         96
        .size:           4
        .value_kind:     hidden_block_count_z
      - .offset:         100
        .size:           2
        .value_kind:     hidden_group_size_x
      - .offset:         102
        .size:           2
        .value_kind:     hidden_group_size_y
      - .offset:         104
        .size:           2
        .value_kind:     hidden_group_size_z
      - .offset:         106
        .size:           2
        .value_kind:     hidden_remainder_x
      - .offset:         108
        .size:           2
        .value_kind:     hidden_remainder_y
      - .offset:         110
        .size:           2
        .value_kind:     hidden_remainder_z
      - .offset:         128
        .size:           8
        .value_kind:     hidden_global_offset_x
      - .offset:         136
        .size:           8
        .value_kind:     hidden_global_offset_y
      - .offset:         144
        .size:           8
        .value_kind:     hidden_global_offset_z
      - .offset:         152
        .size:           2
        .value_kind:     hidden_grid_dims
    .group_segment_fixed_size: 0
    .kernarg_segment_align: 8
    .kernarg_segment_size: 344
    .language:       OpenCL C
    .language_version:
      - 2
      - 0
    .max_flat_workgroup_size: 512
    .name:           _ZL20rocblas_tpmvt_kernelILi512EPKPKdPKPdS4_EvbbiT0_llT1_lllT2_li
    .private_segment_fixed_size: 0
    .sgpr_count:     27
    .sgpr_spill_count: 0
    .symbol:         _ZL20rocblas_tpmvt_kernelILi512EPKPKdPKPdS4_EvbbiT0_llT1_lllT2_li.kd
    .uniform_work_group_size: 1
    .uses_dynamic_stack: false
    .vgpr_count:     20
    .vgpr_spill_count: 0
    .wavefront_size: 32
    .workgroup_processor_mode: 1
  - .args:
      - .offset:         0
        .size:           1
        .value_kind:     by_value
      - .offset:         1
        .size:           1
        .value_kind:     by_value
      - .offset:         4
        .size:           4
        .value_kind:     by_value
      - .address_space:  global
        .offset:         8
        .size:           8
        .value_kind:     global_buffer
      - .offset:         16
        .size:           8
        .value_kind:     by_value
      - .offset:         24
        .size:           8
        .value_kind:     by_value
      - .address_space:  global
        .offset:         32
        .size:           8
        .value_kind:     global_buffer
      - .offset:         40
        .size:           8
        .value_kind:     by_value
      - .offset:         48
        .size:           8
        .value_kind:     by_value
      - .offset:         56
        .size:           8
        .value_kind:     by_value
      - .address_space:  global
        .offset:         64
        .size:           8
        .value_kind:     global_buffer
      - .offset:         72
        .size:           8
        .value_kind:     by_value
      - .offset:         80
        .size:           4
        .value_kind:     by_value
      - .offset:         88
        .size:           4
        .value_kind:     hidden_block_count_x
      - .offset:         92
        .size:           4
        .value_kind:     hidden_block_count_y
      - .offset:         96
        .size:           4
        .value_kind:     hidden_block_count_z
      - .offset:         100
        .size:           2
        .value_kind:     hidden_group_size_x
      - .offset:         102
        .size:           2
        .value_kind:     hidden_group_size_y
      - .offset:         104
        .size:           2
        .value_kind:     hidden_group_size_z
      - .offset:         106
        .size:           2
        .value_kind:     hidden_remainder_x
      - .offset:         108
        .size:           2
        .value_kind:     hidden_remainder_y
      - .offset:         110
        .size:           2
        .value_kind:     hidden_remainder_z
      - .offset:         128
        .size:           8
        .value_kind:     hidden_global_offset_x
      - .offset:         136
        .size:           8
        .value_kind:     hidden_global_offset_y
      - .offset:         144
        .size:           8
        .value_kind:     hidden_global_offset_z
      - .offset:         152
        .size:           2
        .value_kind:     hidden_grid_dims
    .group_segment_fixed_size: 0
    .kernarg_segment_align: 8
    .kernarg_segment_size: 344
    .language:       OpenCL C
    .language_version:
      - 2
      - 0
    .max_flat_workgroup_size: 512
    .name:           _ZL20rocblas_tpmvc_kernelILi512EPKPKdPKPdS4_EvbbiT0_llT1_lllT2_li
    .private_segment_fixed_size: 0
    .sgpr_count:     27
    .sgpr_spill_count: 0
    .symbol:         _ZL20rocblas_tpmvc_kernelILi512EPKPKdPKPdS4_EvbbiT0_llT1_lllT2_li.kd
    .uniform_work_group_size: 1
    .uses_dynamic_stack: false
    .vgpr_count:     20
    .vgpr_spill_count: 0
    .wavefront_size: 32
    .workgroup_processor_mode: 1
  - .args:
      - .offset:         0
        .size:           1
        .value_kind:     by_value
      - .offset:         1
        .size:           1
        .value_kind:     by_value
      - .offset:         4
        .size:           4
        .value_kind:     by_value
      - .address_space:  global
        .offset:         8
        .size:           8
        .value_kind:     global_buffer
      - .offset:         16
        .size:           8
        .value_kind:     by_value
      - .offset:         24
        .size:           8
        .value_kind:     by_value
      - .address_space:  global
        .offset:         32
        .size:           8
        .value_kind:     global_buffer
      - .offset:         40
        .size:           8
        .value_kind:     by_value
      - .offset:         48
        .size:           8
        .value_kind:     by_value
      - .offset:         56
        .size:           8
        .value_kind:     by_value
      - .address_space:  global
        .offset:         64
        .size:           8
        .value_kind:     global_buffer
      - .offset:         72
        .size:           8
        .value_kind:     by_value
      - .offset:         80
        .size:           4
        .value_kind:     by_value
      - .offset:         88
        .size:           4
        .value_kind:     hidden_block_count_x
      - .offset:         92
        .size:           4
        .value_kind:     hidden_block_count_y
      - .offset:         96
        .size:           4
        .value_kind:     hidden_block_count_z
      - .offset:         100
        .size:           2
        .value_kind:     hidden_group_size_x
      - .offset:         102
        .size:           2
        .value_kind:     hidden_group_size_y
      - .offset:         104
        .size:           2
        .value_kind:     hidden_group_size_z
      - .offset:         106
        .size:           2
        .value_kind:     hidden_remainder_x
      - .offset:         108
        .size:           2
        .value_kind:     hidden_remainder_y
      - .offset:         110
        .size:           2
        .value_kind:     hidden_remainder_z
      - .offset:         128
        .size:           8
        .value_kind:     hidden_global_offset_x
      - .offset:         136
        .size:           8
        .value_kind:     hidden_global_offset_y
      - .offset:         144
        .size:           8
        .value_kind:     hidden_global_offset_z
      - .offset:         152
        .size:           2
        .value_kind:     hidden_grid_dims
    .group_segment_fixed_size: 0
    .kernarg_segment_align: 8
    .kernarg_segment_size: 344
    .language:       OpenCL C
    .language_version:
      - 2
      - 0
    .max_flat_workgroup_size: 512
    .name:           _ZL20rocblas_tpmvn_kernelILi512EPKPK19rocblas_complex_numIfEPKPS1_S6_EvbbiT0_llT1_lllT2_li
    .private_segment_fixed_size: 0
    .sgpr_count:     34
    .sgpr_spill_count: 0
    .symbol:         _ZL20rocblas_tpmvn_kernelILi512EPKPK19rocblas_complex_numIfEPKPS1_S6_EvbbiT0_llT1_lllT2_li.kd
    .uniform_work_group_size: 1
    .uses_dynamic_stack: false
    .vgpr_count:     17
    .vgpr_spill_count: 0
    .wavefront_size: 32
    .workgroup_processor_mode: 1
  - .args:
      - .offset:         0
        .size:           1
        .value_kind:     by_value
      - .offset:         1
        .size:           1
        .value_kind:     by_value
      - .offset:         4
        .size:           4
        .value_kind:     by_value
      - .address_space:  global
        .offset:         8
        .size:           8
        .value_kind:     global_buffer
      - .offset:         16
        .size:           8
        .value_kind:     by_value
      - .offset:         24
        .size:           8
        .value_kind:     by_value
      - .address_space:  global
        .offset:         32
        .size:           8
        .value_kind:     global_buffer
      - .offset:         40
        .size:           8
        .value_kind:     by_value
      - .offset:         48
        .size:           8
        .value_kind:     by_value
      - .offset:         56
        .size:           8
        .value_kind:     by_value
      - .address_space:  global
        .offset:         64
        .size:           8
        .value_kind:     global_buffer
      - .offset:         72
        .size:           8
        .value_kind:     by_value
      - .offset:         80
        .size:           4
        .value_kind:     by_value
      - .offset:         88
        .size:           4
        .value_kind:     hidden_block_count_x
      - .offset:         92
        .size:           4
        .value_kind:     hidden_block_count_y
      - .offset:         96
        .size:           4
        .value_kind:     hidden_block_count_z
      - .offset:         100
        .size:           2
        .value_kind:     hidden_group_size_x
      - .offset:         102
        .size:           2
        .value_kind:     hidden_group_size_y
      - .offset:         104
        .size:           2
        .value_kind:     hidden_group_size_z
      - .offset:         106
        .size:           2
        .value_kind:     hidden_remainder_x
      - .offset:         108
        .size:           2
        .value_kind:     hidden_remainder_y
      - .offset:         110
        .size:           2
        .value_kind:     hidden_remainder_z
      - .offset:         128
        .size:           8
        .value_kind:     hidden_global_offset_x
      - .offset:         136
        .size:           8
        .value_kind:     hidden_global_offset_y
      - .offset:         144
        .size:           8
        .value_kind:     hidden_global_offset_z
      - .offset:         152
        .size:           2
        .value_kind:     hidden_grid_dims
    .group_segment_fixed_size: 0
    .kernarg_segment_align: 8
    .kernarg_segment_size: 344
    .language:       OpenCL C
    .language_version:
      - 2
      - 0
    .max_flat_workgroup_size: 512
    .name:           _ZL20rocblas_tpmvt_kernelILi512EPKPK19rocblas_complex_numIfEPKPS1_S6_EvbbiT0_llT1_lllT2_li
    .private_segment_fixed_size: 0
    .sgpr_count:     27
    .sgpr_spill_count: 0
    .symbol:         _ZL20rocblas_tpmvt_kernelILi512EPKPK19rocblas_complex_numIfEPKPS1_S6_EvbbiT0_llT1_lllT2_li.kd
    .uniform_work_group_size: 1
    .uses_dynamic_stack: false
    .vgpr_count:     20
    .vgpr_spill_count: 0
    .wavefront_size: 32
    .workgroup_processor_mode: 1
  - .args:
      - .offset:         0
        .size:           1
        .value_kind:     by_value
      - .offset:         1
        .size:           1
        .value_kind:     by_value
      - .offset:         4
        .size:           4
        .value_kind:     by_value
      - .address_space:  global
        .offset:         8
        .size:           8
        .value_kind:     global_buffer
      - .offset:         16
        .size:           8
        .value_kind:     by_value
      - .offset:         24
        .size:           8
        .value_kind:     by_value
      - .address_space:  global
        .offset:         32
        .size:           8
        .value_kind:     global_buffer
      - .offset:         40
        .size:           8
        .value_kind:     by_value
      - .offset:         48
        .size:           8
        .value_kind:     by_value
      - .offset:         56
        .size:           8
        .value_kind:     by_value
      - .address_space:  global
        .offset:         64
        .size:           8
        .value_kind:     global_buffer
      - .offset:         72
        .size:           8
        .value_kind:     by_value
      - .offset:         80
        .size:           4
        .value_kind:     by_value
      - .offset:         88
        .size:           4
        .value_kind:     hidden_block_count_x
      - .offset:         92
        .size:           4
        .value_kind:     hidden_block_count_y
      - .offset:         96
        .size:           4
        .value_kind:     hidden_block_count_z
      - .offset:         100
        .size:           2
        .value_kind:     hidden_group_size_x
      - .offset:         102
        .size:           2
        .value_kind:     hidden_group_size_y
      - .offset:         104
        .size:           2
        .value_kind:     hidden_group_size_z
      - .offset:         106
        .size:           2
        .value_kind:     hidden_remainder_x
      - .offset:         108
        .size:           2
        .value_kind:     hidden_remainder_y
      - .offset:         110
        .size:           2
        .value_kind:     hidden_remainder_z
      - .offset:         128
        .size:           8
        .value_kind:     hidden_global_offset_x
      - .offset:         136
        .size:           8
        .value_kind:     hidden_global_offset_y
      - .offset:         144
        .size:           8
        .value_kind:     hidden_global_offset_z
      - .offset:         152
        .size:           2
        .value_kind:     hidden_grid_dims
    .group_segment_fixed_size: 0
    .kernarg_segment_align: 8
    .kernarg_segment_size: 344
    .language:       OpenCL C
    .language_version:
      - 2
      - 0
    .max_flat_workgroup_size: 512
    .name:           _ZL20rocblas_tpmvc_kernelILi512EPKPK19rocblas_complex_numIfEPKPS1_S6_EvbbiT0_llT1_lllT2_li
    .private_segment_fixed_size: 0
    .sgpr_count:     24
    .sgpr_spill_count: 0
    .symbol:         _ZL20rocblas_tpmvc_kernelILi512EPKPK19rocblas_complex_numIfEPKPS1_S6_EvbbiT0_llT1_lllT2_li.kd
    .uniform_work_group_size: 1
    .uses_dynamic_stack: false
    .vgpr_count:     19
    .vgpr_spill_count: 0
    .wavefront_size: 32
    .workgroup_processor_mode: 1
  - .args:
      - .offset:         0
        .size:           1
        .value_kind:     by_value
      - .offset:         1
        .size:           1
        .value_kind:     by_value
      - .offset:         4
        .size:           4
        .value_kind:     by_value
      - .address_space:  global
        .offset:         8
        .size:           8
        .value_kind:     global_buffer
      - .offset:         16
        .size:           8
        .value_kind:     by_value
      - .offset:         24
        .size:           8
        .value_kind:     by_value
      - .address_space:  global
        .offset:         32
        .size:           8
        .value_kind:     global_buffer
      - .offset:         40
        .size:           8
        .value_kind:     by_value
      - .offset:         48
        .size:           8
        .value_kind:     by_value
      - .offset:         56
        .size:           8
        .value_kind:     by_value
      - .address_space:  global
        .offset:         64
        .size:           8
        .value_kind:     global_buffer
      - .offset:         72
        .size:           8
        .value_kind:     by_value
      - .offset:         80
        .size:           4
        .value_kind:     by_value
      - .offset:         88
        .size:           4
        .value_kind:     hidden_block_count_x
      - .offset:         92
        .size:           4
        .value_kind:     hidden_block_count_y
      - .offset:         96
        .size:           4
        .value_kind:     hidden_block_count_z
      - .offset:         100
        .size:           2
        .value_kind:     hidden_group_size_x
      - .offset:         102
        .size:           2
        .value_kind:     hidden_group_size_y
      - .offset:         104
        .size:           2
        .value_kind:     hidden_group_size_z
      - .offset:         106
        .size:           2
        .value_kind:     hidden_remainder_x
      - .offset:         108
        .size:           2
        .value_kind:     hidden_remainder_y
      - .offset:         110
        .size:           2
        .value_kind:     hidden_remainder_z
      - .offset:         128
        .size:           8
        .value_kind:     hidden_global_offset_x
      - .offset:         136
        .size:           8
        .value_kind:     hidden_global_offset_y
      - .offset:         144
        .size:           8
        .value_kind:     hidden_global_offset_z
      - .offset:         152
        .size:           2
        .value_kind:     hidden_grid_dims
    .group_segment_fixed_size: 0
    .kernarg_segment_align: 8
    .kernarg_segment_size: 344
    .language:       OpenCL C
    .language_version:
      - 2
      - 0
    .max_flat_workgroup_size: 512
    .name:           _ZL20rocblas_tpmvn_kernelILi512EPKPK19rocblas_complex_numIdEPKPS1_S6_EvbbiT0_llT1_lllT2_li
    .private_segment_fixed_size: 0
    .sgpr_count:     34
    .sgpr_spill_count: 0
    .symbol:         _ZL20rocblas_tpmvn_kernelILi512EPKPK19rocblas_complex_numIdEPKPS1_S6_EvbbiT0_llT1_lllT2_li.kd
    .uniform_work_group_size: 1
    .uses_dynamic_stack: false
    .vgpr_count:     24
    .vgpr_spill_count: 0
    .wavefront_size: 32
    .workgroup_processor_mode: 1
  - .args:
      - .offset:         0
        .size:           1
        .value_kind:     by_value
      - .offset:         1
        .size:           1
        .value_kind:     by_value
      - .offset:         4
        .size:           4
        .value_kind:     by_value
      - .address_space:  global
        .offset:         8
        .size:           8
        .value_kind:     global_buffer
      - .offset:         16
        .size:           8
        .value_kind:     by_value
      - .offset:         24
        .size:           8
        .value_kind:     by_value
      - .address_space:  global
        .offset:         32
        .size:           8
        .value_kind:     global_buffer
      - .offset:         40
        .size:           8
        .value_kind:     by_value
      - .offset:         48
        .size:           8
        .value_kind:     by_value
      - .offset:         56
        .size:           8
        .value_kind:     by_value
      - .address_space:  global
        .offset:         64
        .size:           8
        .value_kind:     global_buffer
      - .offset:         72
        .size:           8
        .value_kind:     by_value
      - .offset:         80
        .size:           4
        .value_kind:     by_value
      - .offset:         88
        .size:           4
        .value_kind:     hidden_block_count_x
      - .offset:         92
        .size:           4
        .value_kind:     hidden_block_count_y
      - .offset:         96
        .size:           4
        .value_kind:     hidden_block_count_z
      - .offset:         100
        .size:           2
        .value_kind:     hidden_group_size_x
      - .offset:         102
        .size:           2
        .value_kind:     hidden_group_size_y
      - .offset:         104
        .size:           2
        .value_kind:     hidden_group_size_z
      - .offset:         106
        .size:           2
        .value_kind:     hidden_remainder_x
      - .offset:         108
        .size:           2
        .value_kind:     hidden_remainder_y
      - .offset:         110
        .size:           2
        .value_kind:     hidden_remainder_z
      - .offset:         128
        .size:           8
        .value_kind:     hidden_global_offset_x
      - .offset:         136
        .size:           8
        .value_kind:     hidden_global_offset_y
      - .offset:         144
        .size:           8
        .value_kind:     hidden_global_offset_z
      - .offset:         152
        .size:           2
        .value_kind:     hidden_grid_dims
    .group_segment_fixed_size: 0
    .kernarg_segment_align: 8
    .kernarg_segment_size: 344
    .language:       OpenCL C
    .language_version:
      - 2
      - 0
    .max_flat_workgroup_size: 512
    .name:           _ZL20rocblas_tpmvt_kernelILi512EPKPK19rocblas_complex_numIdEPKPS1_S6_EvbbiT0_llT1_lllT2_li
    .private_segment_fixed_size: 0
    .sgpr_count:     24
    .sgpr_spill_count: 0
    .symbol:         _ZL20rocblas_tpmvt_kernelILi512EPKPK19rocblas_complex_numIdEPKPS1_S6_EvbbiT0_llT1_lllT2_li.kd
    .uniform_work_group_size: 1
    .uses_dynamic_stack: false
    .vgpr_count:     25
    .vgpr_spill_count: 0
    .wavefront_size: 32
    .workgroup_processor_mode: 1
  - .args:
      - .offset:         0
        .size:           1
        .value_kind:     by_value
      - .offset:         1
        .size:           1
        .value_kind:     by_value
      - .offset:         4
        .size:           4
        .value_kind:     by_value
      - .address_space:  global
        .offset:         8
        .size:           8
        .value_kind:     global_buffer
      - .offset:         16
        .size:           8
        .value_kind:     by_value
      - .offset:         24
        .size:           8
        .value_kind:     by_value
      - .address_space:  global
        .offset:         32
        .size:           8
        .value_kind:     global_buffer
      - .offset:         40
        .size:           8
        .value_kind:     by_value
      - .offset:         48
        .size:           8
        .value_kind:     by_value
      - .offset:         56
        .size:           8
        .value_kind:     by_value
      - .address_space:  global
        .offset:         64
        .size:           8
        .value_kind:     global_buffer
      - .offset:         72
        .size:           8
        .value_kind:     by_value
      - .offset:         80
        .size:           4
        .value_kind:     by_value
      - .offset:         88
        .size:           4
        .value_kind:     hidden_block_count_x
      - .offset:         92
        .size:           4
        .value_kind:     hidden_block_count_y
      - .offset:         96
        .size:           4
        .value_kind:     hidden_block_count_z
      - .offset:         100
        .size:           2
        .value_kind:     hidden_group_size_x
      - .offset:         102
        .size:           2
        .value_kind:     hidden_group_size_y
      - .offset:         104
        .size:           2
        .value_kind:     hidden_group_size_z
      - .offset:         106
        .size:           2
        .value_kind:     hidden_remainder_x
      - .offset:         108
        .size:           2
        .value_kind:     hidden_remainder_y
      - .offset:         110
        .size:           2
        .value_kind:     hidden_remainder_z
      - .offset:         128
        .size:           8
        .value_kind:     hidden_global_offset_x
      - .offset:         136
        .size:           8
        .value_kind:     hidden_global_offset_y
      - .offset:         144
        .size:           8
        .value_kind:     hidden_global_offset_z
      - .offset:         152
        .size:           2
        .value_kind:     hidden_grid_dims
    .group_segment_fixed_size: 0
    .kernarg_segment_align: 8
    .kernarg_segment_size: 344
    .language:       OpenCL C
    .language_version:
      - 2
      - 0
    .max_flat_workgroup_size: 512
    .name:           _ZL20rocblas_tpmvc_kernelILi512EPKPK19rocblas_complex_numIdEPKPS1_S6_EvbbiT0_llT1_lllT2_li
    .private_segment_fixed_size: 0
    .sgpr_count:     24
    .sgpr_spill_count: 0
    .symbol:         _ZL20rocblas_tpmvc_kernelILi512EPKPK19rocblas_complex_numIdEPKPS1_S6_EvbbiT0_llT1_lllT2_li.kd
    .uniform_work_group_size: 1
    .uses_dynamic_stack: false
    .vgpr_count:     25
    .vgpr_spill_count: 0
    .wavefront_size: 32
    .workgroup_processor_mode: 1
amdhsa.target:   amdgcn-amd-amdhsa--gfx1100
amdhsa.version:
  - 1
  - 2
...

	.end_amdgpu_metadata
